;; amdgpu-corpus repo=ROCm/rocFFT kind=compiled arch=gfx1201 opt=O3
	.text
	.amdgcn_target "amdgcn-amd-amdhsa--gfx1201"
	.amdhsa_code_object_version 6
	.protected	fft_rtc_fwd_len1960_factors_4_7_2_7_5_wgs_56_tpt_56_halfLds_half_ip_CI_unitstride_sbrr_R2C_dirReg ; -- Begin function fft_rtc_fwd_len1960_factors_4_7_2_7_5_wgs_56_tpt_56_halfLds_half_ip_CI_unitstride_sbrr_R2C_dirReg
	.globl	fft_rtc_fwd_len1960_factors_4_7_2_7_5_wgs_56_tpt_56_halfLds_half_ip_CI_unitstride_sbrr_R2C_dirReg
	.p2align	8
	.type	fft_rtc_fwd_len1960_factors_4_7_2_7_5_wgs_56_tpt_56_halfLds_half_ip_CI_unitstride_sbrr_R2C_dirReg,@function
fft_rtc_fwd_len1960_factors_4_7_2_7_5_wgs_56_tpt_56_halfLds_half_ip_CI_unitstride_sbrr_R2C_dirReg: ; @fft_rtc_fwd_len1960_factors_4_7_2_7_5_wgs_56_tpt_56_halfLds_half_ip_CI_unitstride_sbrr_R2C_dirReg
; %bb.0:
	s_clause 0x2
	s_load_b128 s[4:7], s[0:1], 0x0
	s_load_b64 s[8:9], s[0:1], 0x50
	s_load_b64 s[10:11], s[0:1], 0x18
	v_mul_u32_u24_e32 v1, 0x493, v0
	v_mov_b32_e32 v3, 0
	s_delay_alu instid0(VALU_DEP_2) | instskip(NEXT) | instid1(VALU_DEP_1)
	v_lshrrev_b32_e32 v1, 16, v1
	v_add_nc_u32_e32 v5, ttmp9, v1
	v_mov_b32_e32 v1, 0
	v_mov_b32_e32 v2, 0
	;; [unrolled: 1-line block ×3, first 2 shown]
	s_wait_kmcnt 0x0
	v_cmp_lt_u64_e64 s2, s[6:7], 2
	s_delay_alu instid0(VALU_DEP_1)
	s_and_b32 vcc_lo, exec_lo, s2
	s_cbranch_vccnz .LBB0_8
; %bb.1:
	s_load_b64 s[2:3], s[0:1], 0x10
	v_mov_b32_e32 v1, 0
	v_mov_b32_e32 v2, 0
	s_add_nc_u64 s[12:13], s[10:11], 8
	s_mov_b64 s[14:15], 1
	s_wait_kmcnt 0x0
	s_add_nc_u64 s[16:17], s[2:3], 8
	s_mov_b32 s3, 0
.LBB0_2:                                ; =>This Inner Loop Header: Depth=1
	s_load_b64 s[18:19], s[16:17], 0x0
                                        ; implicit-def: $vgpr11_vgpr12
	s_mov_b32 s2, exec_lo
	s_wait_kmcnt 0x0
	v_or_b32_e32 v4, s19, v6
	s_delay_alu instid0(VALU_DEP_1)
	v_cmpx_ne_u64_e32 0, v[3:4]
	s_wait_alu 0xfffe
	s_xor_b32 s20, exec_lo, s2
	s_cbranch_execz .LBB0_4
; %bb.3:                                ;   in Loop: Header=BB0_2 Depth=1
	s_cvt_f32_u32 s2, s18
	s_cvt_f32_u32 s21, s19
	s_sub_nc_u64 s[24:25], 0, s[18:19]
	s_wait_alu 0xfffe
	s_delay_alu instid0(SALU_CYCLE_1) | instskip(SKIP_1) | instid1(SALU_CYCLE_2)
	s_fmamk_f32 s2, s21, 0x4f800000, s2
	s_wait_alu 0xfffe
	v_s_rcp_f32 s2, s2
	s_delay_alu instid0(TRANS32_DEP_1) | instskip(SKIP_1) | instid1(SALU_CYCLE_2)
	s_mul_f32 s2, s2, 0x5f7ffffc
	s_wait_alu 0xfffe
	s_mul_f32 s21, s2, 0x2f800000
	s_wait_alu 0xfffe
	s_delay_alu instid0(SALU_CYCLE_2) | instskip(SKIP_1) | instid1(SALU_CYCLE_2)
	s_trunc_f32 s21, s21
	s_wait_alu 0xfffe
	s_fmamk_f32 s2, s21, 0xcf800000, s2
	s_cvt_u32_f32 s23, s21
	s_wait_alu 0xfffe
	s_delay_alu instid0(SALU_CYCLE_1) | instskip(SKIP_1) | instid1(SALU_CYCLE_2)
	s_cvt_u32_f32 s22, s2
	s_wait_alu 0xfffe
	s_mul_u64 s[26:27], s[24:25], s[22:23]
	s_wait_alu 0xfffe
	s_mul_hi_u32 s29, s22, s27
	s_mul_i32 s28, s22, s27
	s_mul_hi_u32 s2, s22, s26
	s_mul_i32 s30, s23, s26
	s_wait_alu 0xfffe
	s_add_nc_u64 s[28:29], s[2:3], s[28:29]
	s_mul_hi_u32 s21, s23, s26
	s_mul_hi_u32 s31, s23, s27
	s_add_co_u32 s2, s28, s30
	s_wait_alu 0xfffe
	s_add_co_ci_u32 s2, s29, s21
	s_mul_i32 s26, s23, s27
	s_add_co_ci_u32 s27, s31, 0
	s_wait_alu 0xfffe
	s_add_nc_u64 s[26:27], s[2:3], s[26:27]
	s_wait_alu 0xfffe
	v_add_co_u32 v4, s2, s22, s26
	s_delay_alu instid0(VALU_DEP_1) | instskip(SKIP_1) | instid1(VALU_DEP_1)
	s_cmp_lg_u32 s2, 0
	s_add_co_ci_u32 s23, s23, s27
	v_readfirstlane_b32 s22, v4
	s_wait_alu 0xfffe
	s_delay_alu instid0(VALU_DEP_1)
	s_mul_u64 s[24:25], s[24:25], s[22:23]
	s_wait_alu 0xfffe
	s_mul_hi_u32 s27, s22, s25
	s_mul_i32 s26, s22, s25
	s_mul_hi_u32 s2, s22, s24
	s_mul_i32 s28, s23, s24
	s_wait_alu 0xfffe
	s_add_nc_u64 s[26:27], s[2:3], s[26:27]
	s_mul_hi_u32 s21, s23, s24
	s_mul_hi_u32 s22, s23, s25
	s_wait_alu 0xfffe
	s_add_co_u32 s2, s26, s28
	s_add_co_ci_u32 s2, s27, s21
	s_mul_i32 s24, s23, s25
	s_add_co_ci_u32 s25, s22, 0
	s_wait_alu 0xfffe
	s_add_nc_u64 s[24:25], s[2:3], s[24:25]
	s_wait_alu 0xfffe
	v_add_co_u32 v4, s2, v4, s24
	s_delay_alu instid0(VALU_DEP_1) | instskip(SKIP_1) | instid1(VALU_DEP_1)
	s_cmp_lg_u32 s2, 0
	s_add_co_ci_u32 s2, s23, s25
	v_mul_hi_u32 v13, v5, v4
	s_wait_alu 0xfffe
	v_mad_co_u64_u32 v[7:8], null, v5, s2, 0
	v_mad_co_u64_u32 v[9:10], null, v6, v4, 0
	;; [unrolled: 1-line block ×3, first 2 shown]
	s_delay_alu instid0(VALU_DEP_3) | instskip(SKIP_1) | instid1(VALU_DEP_4)
	v_add_co_u32 v4, vcc_lo, v13, v7
	s_wait_alu 0xfffd
	v_add_co_ci_u32_e32 v7, vcc_lo, 0, v8, vcc_lo
	s_delay_alu instid0(VALU_DEP_2) | instskip(SKIP_1) | instid1(VALU_DEP_2)
	v_add_co_u32 v4, vcc_lo, v4, v9
	s_wait_alu 0xfffd
	v_add_co_ci_u32_e32 v4, vcc_lo, v7, v10, vcc_lo
	s_wait_alu 0xfffd
	v_add_co_ci_u32_e32 v7, vcc_lo, 0, v12, vcc_lo
	s_delay_alu instid0(VALU_DEP_2) | instskip(SKIP_1) | instid1(VALU_DEP_2)
	v_add_co_u32 v4, vcc_lo, v4, v11
	s_wait_alu 0xfffd
	v_add_co_ci_u32_e32 v9, vcc_lo, 0, v7, vcc_lo
	s_delay_alu instid0(VALU_DEP_2) | instskip(SKIP_1) | instid1(VALU_DEP_3)
	v_mul_lo_u32 v10, s19, v4
	v_mad_co_u64_u32 v[7:8], null, s18, v4, 0
	v_mul_lo_u32 v11, s18, v9
	s_delay_alu instid0(VALU_DEP_2) | instskip(NEXT) | instid1(VALU_DEP_2)
	v_sub_co_u32 v7, vcc_lo, v5, v7
	v_add3_u32 v8, v8, v11, v10
	s_delay_alu instid0(VALU_DEP_1) | instskip(SKIP_1) | instid1(VALU_DEP_1)
	v_sub_nc_u32_e32 v10, v6, v8
	s_wait_alu 0xfffd
	v_subrev_co_ci_u32_e64 v10, s2, s19, v10, vcc_lo
	v_add_co_u32 v11, s2, v4, 2
	s_wait_alu 0xf1ff
	v_add_co_ci_u32_e64 v12, s2, 0, v9, s2
	v_sub_co_u32 v13, s2, v7, s18
	v_sub_co_ci_u32_e32 v8, vcc_lo, v6, v8, vcc_lo
	s_wait_alu 0xf1ff
	v_subrev_co_ci_u32_e64 v10, s2, 0, v10, s2
	s_delay_alu instid0(VALU_DEP_3) | instskip(NEXT) | instid1(VALU_DEP_3)
	v_cmp_le_u32_e32 vcc_lo, s18, v13
	v_cmp_eq_u32_e64 s2, s19, v8
	s_wait_alu 0xfffd
	v_cndmask_b32_e64 v13, 0, -1, vcc_lo
	v_cmp_le_u32_e32 vcc_lo, s19, v10
	s_wait_alu 0xfffd
	v_cndmask_b32_e64 v14, 0, -1, vcc_lo
	v_cmp_le_u32_e32 vcc_lo, s18, v7
	;; [unrolled: 3-line block ×3, first 2 shown]
	s_wait_alu 0xfffd
	v_cndmask_b32_e64 v15, 0, -1, vcc_lo
	v_cmp_eq_u32_e32 vcc_lo, s19, v10
	s_wait_alu 0xf1ff
	s_delay_alu instid0(VALU_DEP_2)
	v_cndmask_b32_e64 v7, v15, v7, s2
	s_wait_alu 0xfffd
	v_cndmask_b32_e32 v10, v14, v13, vcc_lo
	v_add_co_u32 v13, vcc_lo, v4, 1
	s_wait_alu 0xfffd
	v_add_co_ci_u32_e32 v14, vcc_lo, 0, v9, vcc_lo
	s_delay_alu instid0(VALU_DEP_3) | instskip(SKIP_2) | instid1(VALU_DEP_3)
	v_cmp_ne_u32_e32 vcc_lo, 0, v10
	s_wait_alu 0xfffd
	v_cndmask_b32_e32 v10, v13, v11, vcc_lo
	v_cndmask_b32_e32 v8, v14, v12, vcc_lo
	v_cmp_ne_u32_e32 vcc_lo, 0, v7
	s_wait_alu 0xfffd
	s_delay_alu instid0(VALU_DEP_2)
	v_dual_cndmask_b32 v11, v4, v10 :: v_dual_cndmask_b32 v12, v9, v8
.LBB0_4:                                ;   in Loop: Header=BB0_2 Depth=1
	s_wait_alu 0xfffe
	s_and_not1_saveexec_b32 s2, s20
	s_cbranch_execz .LBB0_6
; %bb.5:                                ;   in Loop: Header=BB0_2 Depth=1
	v_cvt_f32_u32_e32 v4, s18
	s_sub_co_i32 s20, 0, s18
	v_mov_b32_e32 v12, v3
	s_delay_alu instid0(VALU_DEP_2) | instskip(NEXT) | instid1(TRANS32_DEP_1)
	v_rcp_iflag_f32_e32 v4, v4
	v_mul_f32_e32 v4, 0x4f7ffffe, v4
	s_delay_alu instid0(VALU_DEP_1) | instskip(SKIP_1) | instid1(VALU_DEP_1)
	v_cvt_u32_f32_e32 v4, v4
	s_wait_alu 0xfffe
	v_mul_lo_u32 v7, s20, v4
	s_delay_alu instid0(VALU_DEP_1) | instskip(NEXT) | instid1(VALU_DEP_1)
	v_mul_hi_u32 v7, v4, v7
	v_add_nc_u32_e32 v4, v4, v7
	s_delay_alu instid0(VALU_DEP_1) | instskip(NEXT) | instid1(VALU_DEP_1)
	v_mul_hi_u32 v4, v5, v4
	v_mul_lo_u32 v7, v4, s18
	v_add_nc_u32_e32 v8, 1, v4
	s_delay_alu instid0(VALU_DEP_2) | instskip(NEXT) | instid1(VALU_DEP_1)
	v_sub_nc_u32_e32 v7, v5, v7
	v_subrev_nc_u32_e32 v9, s18, v7
	v_cmp_le_u32_e32 vcc_lo, s18, v7
	s_wait_alu 0xfffd
	s_delay_alu instid0(VALU_DEP_2) | instskip(NEXT) | instid1(VALU_DEP_1)
	v_dual_cndmask_b32 v7, v7, v9 :: v_dual_cndmask_b32 v4, v4, v8
	v_cmp_le_u32_e32 vcc_lo, s18, v7
	s_delay_alu instid0(VALU_DEP_2) | instskip(SKIP_1) | instid1(VALU_DEP_1)
	v_add_nc_u32_e32 v8, 1, v4
	s_wait_alu 0xfffd
	v_cndmask_b32_e32 v11, v4, v8, vcc_lo
.LBB0_6:                                ;   in Loop: Header=BB0_2 Depth=1
	s_wait_alu 0xfffe
	s_or_b32 exec_lo, exec_lo, s2
	s_load_b64 s[20:21], s[12:13], 0x0
	v_mul_lo_u32 v4, v12, s18
	v_mul_lo_u32 v9, v11, s19
	v_mad_co_u64_u32 v[7:8], null, v11, s18, 0
	s_add_nc_u64 s[14:15], s[14:15], 1
	s_add_nc_u64 s[12:13], s[12:13], 8
	s_wait_alu 0xfffe
	v_cmp_ge_u64_e64 s2, s[14:15], s[6:7]
	s_add_nc_u64 s[16:17], s[16:17], 8
	s_delay_alu instid0(VALU_DEP_2) | instskip(NEXT) | instid1(VALU_DEP_3)
	v_add3_u32 v4, v8, v9, v4
	v_sub_co_u32 v5, vcc_lo, v5, v7
	s_wait_alu 0xfffd
	s_delay_alu instid0(VALU_DEP_2) | instskip(SKIP_3) | instid1(VALU_DEP_2)
	v_sub_co_ci_u32_e32 v4, vcc_lo, v6, v4, vcc_lo
	s_and_b32 vcc_lo, exec_lo, s2
	s_wait_kmcnt 0x0
	v_mul_lo_u32 v6, s21, v5
	v_mul_lo_u32 v4, s20, v4
	v_mad_co_u64_u32 v[1:2], null, s20, v5, v[1:2]
	s_delay_alu instid0(VALU_DEP_1)
	v_add3_u32 v2, v6, v2, v4
	s_wait_alu 0xfffe
	s_cbranch_vccnz .LBB0_9
; %bb.7:                                ;   in Loop: Header=BB0_2 Depth=1
	v_dual_mov_b32 v5, v11 :: v_dual_mov_b32 v6, v12
	s_branch .LBB0_2
.LBB0_8:
	v_dual_mov_b32 v12, v6 :: v_dual_mov_b32 v11, v5
.LBB0_9:
	s_lshl_b64 s[2:3], s[6:7], 3
	v_mul_hi_u32 v3, 0x4924925, v0
	s_wait_alu 0xfffe
	s_add_nc_u64 s[2:3], s[10:11], s[2:3]
	s_load_b64 s[0:1], s[0:1], 0x20
	s_load_b64 s[2:3], s[2:3], 0x0
	s_delay_alu instid0(VALU_DEP_1) | instskip(NEXT) | instid1(VALU_DEP_1)
	v_mul_u32_u24_e32 v3, 56, v3
	v_sub_nc_u32_e32 v4, v0, v3
	s_delay_alu instid0(VALU_DEP_1)
	v_add_nc_u32_e32 v8, 56, v4
	v_add_nc_u32_e32 v17, 0x70, v4
	;; [unrolled: 1-line block ×4, first 2 shown]
	s_wait_kmcnt 0x0
	v_cmp_gt_u64_e32 vcc_lo, s[0:1], v[11:12]
	v_mul_lo_u32 v3, s2, v12
	v_mul_lo_u32 v5, s3, v11
	v_mad_co_u64_u32 v[0:1], null, s2, v11, v[1:2]
	v_cmp_le_u64_e64 s0, s[0:1], v[11:12]
	v_add_nc_u32_e32 v14, 0x118, v4
	v_add_nc_u32_e32 v13, 0x150, v4
	;; [unrolled: 1-line block ×3, first 2 shown]
	v_or_b32_e32 v12, 0x1c0, v4
	v_add3_u32 v1, v5, v1, v3
	s_and_saveexec_b32 s1, s0
	s_wait_alu 0xfffe
	s_xor_b32 s0, exec_lo, s1
; %bb.10:
	v_add_nc_u32_e32 v8, 56, v4
	v_add_nc_u32_e32 v17, 0x70, v4
	;; [unrolled: 1-line block ×7, first 2 shown]
	v_or_b32_e32 v12, 0x1c0, v4
; %bb.11:
	s_wait_alu 0xfffe
	s_or_saveexec_b32 s1, s0
	v_lshlrev_b64_e32 v[6:7], 2, v[0:1]
	v_lshl_add_u32 v47, v4, 2, 0
	s_wait_alu 0xfffe
	s_xor_b32 exec_lo, exec_lo, s1
	s_cbranch_execz .LBB0_13
; %bb.12:
	s_delay_alu instid0(VALU_DEP_1) | instskip(SKIP_3) | instid1(VALU_DEP_3)
	v_dual_mov_b32 v5, 0 :: v_dual_add_nc_u32 v48, 0x400, v47
	v_add_co_u32 v2, s0, s8, v6
	s_wait_alu 0xf1ff
	v_add_co_ci_u32_e64 v3, s0, s9, v7, s0
	v_lshlrev_b64_e32 v[0:1], 2, v[4:5]
	v_add_nc_u32_e32 v49, 0x800, v47
	v_add_nc_u32_e32 v50, 0xc00, v47
	v_add_nc_u32_e32 v51, 0xe00, v47
	v_add_nc_u32_e32 v52, 0x1000, v47
	v_add_nc_u32_e32 v53, 0x1200, v47
	v_add_co_u32 v0, s0, v2, v0
	s_wait_alu 0xf1ff
	v_add_co_ci_u32_e64 v1, s0, v3, v1, s0
	v_add_nc_u32_e32 v54, 0x1400, v47
	v_add_nc_u32_e32 v55, 0x1800, v47
	s_clause 0x1f
	global_load_b32 v2, v[0:1], off
	global_load_b32 v3, v[0:1], off offset:224
	global_load_b32 v5, v[0:1], off offset:448
	;; [unrolled: 1-line block ×31, first 2 shown]
	s_clause 0x2
	global_load_b32 v45, v[0:1], off offset:7168
	global_load_b32 v46, v[0:1], off offset:7392
	;; [unrolled: 1-line block ×3, first 2 shown]
	v_add_nc_u32_e32 v1, 0x200, v47
	v_add_nc_u32_e32 v56, 0x1c00, v47
	s_wait_loadcnt 0x21
	ds_store_2addr_b32 v47, v2, v3 offset1:56
	s_wait_loadcnt 0x1f
	ds_store_2addr_b32 v47, v5, v9 offset0:112 offset1:168
	s_wait_loadcnt 0x1d
	ds_store_2addr_b32 v1, v11, v18 offset0:96 offset1:152
	;; [unrolled: 2-line block ×15, first 2 shown]
	s_wait_loadcnt 0x1
	ds_store_2addr_b32 v56, v45, v46 offset1:56
	s_wait_loadcnt 0x0
	ds_store_b32 v47, v0 offset:7616
.LBB0_13:
	s_or_b32 exec_lo, exec_lo, s1
	v_add_nc_u32_e32 v9, 0xc00, v47
	v_add_nc_u32_e32 v2, 0x400, v47
	;; [unrolled: 1-line block ×4, first 2 shown]
	global_wb scope:SCOPE_SE
	s_wait_dscnt 0x0
	s_barrier_signal -1
	s_barrier_wait -1
	global_inv scope:SCOPE_SE
	ds_load_2addr_b32 v[0:1], v9 offset0:114 offset1:170
	ds_load_2addr_b32 v[20:21], v2 offset0:80 offset1:136
	;; [unrolled: 1-line block ×6, first 2 shown]
	v_add_nc_u32_e32 v28, 0x1a00, v47
	ds_load_2addr_b32 v[26:27], v9 offset0:2 offset1:58
	ds_load_2addr_b32 v[28:29], v28 offset0:86 offset1:142
	v_add_nc_u32_e32 v9, 0x200, v47
	v_add_nc_u32_e32 v40, 0x1000, v47
	v_add_nc_u32_e32 v46, 0x800, v47
	v_mad_u32_u24 v11, v4, 12, v47
	v_lshl_add_u32 v34, v8, 4, 0
	v_lshl_add_u32 v35, v17, 4, 0
	;; [unrolled: 1-line block ×7, first 2 shown]
	s_wait_dscnt 0x5
	v_pk_add_f16 v32, v21, v23 neg_lo:[0,1] neg_hi:[0,1]
	s_wait_dscnt 0x4
	v_pk_add_f16 v33, v0, v18 neg_lo:[0,1] neg_hi:[0,1]
	v_pk_add_f16 v22, v20, v22 neg_lo:[0,1] neg_hi:[0,1]
	s_wait_dscnt 0x2
	v_pk_add_f16 v18, v2, v24 neg_lo:[0,1] neg_hi:[0,1]
	ds_load_2addr_b32 v[23:24], v9 offset0:96 offset1:152
	ds_load_2addr_b32 v[30:31], v40 offset0:180 offset1:236
	v_pk_fma_f16 v21, v21, 2.0, v32 op_sel_hi:[1,0,1] neg_lo:[0,0,1] neg_hi:[0,0,1]
	v_pk_fma_f16 v41, v0, 2.0, v33 op_sel_hi:[1,0,1] neg_lo:[0,0,1] neg_hi:[0,0,1]
	v_alignbit_b32 v42, s0, v33, 16
	v_alignbit_b32 v43, s0, v32, 16
	s_wait_dscnt 0x2
	v_pk_add_f16 v29, v27, v29 neg_lo:[0,1] neg_hi:[0,1]
	v_pk_fma_f16 v48, v20, 2.0, v22 op_sel_hi:[1,0,1] neg_lo:[0,0,1] neg_hi:[0,0,1]
	v_pk_add_f16 v41, v21, v41 neg_lo:[0,1] neg_hi:[0,1]
	v_pk_add_f16 v42, v32, v42 neg_lo:[0,1] neg_hi:[0,1]
	v_pk_add_f16 v43, v43, v33
	v_pk_fma_f16 v27, v27, 2.0, v29 op_sel_hi:[1,0,1] neg_lo:[0,0,1] neg_hi:[0,0,1]
	v_pk_add_f16 v52, v26, v28 neg_lo:[0,1] neg_hi:[0,1]
	v_pk_fma_f16 v44, v21, 2.0, v41 op_sel_hi:[1,0,1] neg_lo:[0,0,1] neg_hi:[0,0,1]
	v_lshrrev_b32_e32 v21, 16, v32
	v_fma_f16 v45, v32, 2.0, -v42
	v_add_nc_u32_e32 v32, 0x1800, v47
	v_pk_add_f16 v51, v48, v27 neg_lo:[0,1] neg_hi:[0,1]
	v_alignbit_b32 v27, s0, v22, 16
	v_fma_f16 v49, v21, 2.0, -v43
	ds_load_2addr_b32 v[20:21], v46 offset0:146 offset1:202
	ds_load_2addr_b32 v[32:33], v32 offset0:102 offset1:158
	v_alignbit_b32 v50, s0, v29, 16
	v_pk_fma_f16 v55, v26, 2.0, v52 op_sel_hi:[1,0,1] neg_lo:[0,0,1] neg_hi:[0,0,1]
	v_pk_add_f16 v54, v27, v29
	ds_load_2addr_b32 v[26:27], v47 offset0:112 offset1:168
	ds_load_2addr_b32 v[28:29], v40 offset0:68 offset1:124
	s_wait_dscnt 0x4
	v_pk_add_f16 v31, v24, v31 neg_lo:[0,1] neg_hi:[0,1]
	v_pk_add_f16 v50, v22, v50 neg_lo:[0,1] neg_hi:[0,1]
	v_lshrrev_b32_e32 v53, 16, v22
	v_pk_fma_f16 v40, v48, 2.0, v51 op_sel_hi:[1,0,1] neg_lo:[0,0,1] neg_hi:[0,0,1]
	v_pk_add_f16 v57, v23, v30 neg_lo:[0,1] neg_hi:[0,1]
	v_pk_fma_f16 v24, v24, 2.0, v31 op_sel_hi:[1,0,1] neg_lo:[0,0,1] neg_hi:[0,0,1]
	v_fma_f16 v48, v22, 2.0, -v50
	v_alignbit_b32 v22, s0, v52, 16
	v_alignbit_b32 v56, s0, v31, 16
	v_pk_add_f16 v25, v3, v25 neg_lo:[0,1] neg_hi:[0,1]
	v_pk_add_f16 v55, v24, v55 neg_lo:[0,1] neg_hi:[0,1]
	v_alignbit_b32 v65, s0, v57, 16
	v_pk_add_f16 v58, v31, v22 neg_lo:[0,1] neg_hi:[0,1]
	v_lshrrev_b32_e32 v22, 16, v31
	v_pk_add_f16 v52, v56, v52
	s_wait_dscnt 0x2
	v_pk_add_f16 v33, v21, v33 neg_lo:[0,1] neg_hi:[0,1]
	v_pk_fma_f16 v56, v23, 2.0, v57 op_sel_hi:[1,0,1] neg_lo:[0,0,1] neg_hi:[0,0,1]
	v_fma_f16 v60, v31, 2.0, -v58
	v_add_nc_u32_e32 v23, 0x1600, v47
	v_add_nc_u32_e32 v31, 0xe00, v47
	v_pk_fma_f16 v21, v21, 2.0, v33 op_sel_hi:[1,0,1] neg_lo:[0,0,1] neg_hi:[0,0,1]
	v_alignbit_b32 v30, s0, v33, 16
	v_pk_fma_f16 v59, v24, 2.0, v55 op_sel_hi:[1,0,1] neg_lo:[0,0,1] neg_hi:[0,0,1]
	v_fma_f16 v61, v22, 2.0, -v52
	s_wait_dscnt 0x0
	v_pk_add_f16 v63, v27, v29 neg_lo:[0,1] neg_hi:[0,1]
	v_pk_add_f16 v62, v56, v21 neg_lo:[0,1] neg_hi:[0,1]
	ds_load_2addr_b32 v[21:22], v46 offset0:34 offset1:90
	ds_load_2addr_b32 v[23:24], v23 offset0:118 offset1:174
	v_pk_add_f16 v46, v20, v32 neg_lo:[0,1] neg_hi:[0,1]
	v_pk_add_f16 v64, v57, v30 neg_lo:[0,1] neg_hi:[0,1]
	ds_load_2addr_b32 v[29:30], v47 offset1:56
	ds_load_2addr_b32 v[31:32], v31 offset0:84 offset1:140
	v_pk_add_f16 v28, v26, v28 neg_lo:[0,1] neg_hi:[0,1]
	v_alignbit_b32 v67, s0, v63, 16
	v_alignbit_b32 v71, s0, v25, 16
	v_pk_fma_f16 v20, v20, 2.0, v46 op_sel_hi:[1,0,1] neg_lo:[0,0,1] neg_hi:[0,0,1]
	v_pk_add_f16 v33, v65, v33
	v_alignbit_b32 v69, s0, v28, 16
	v_alignbit_b32 v65, s0, v46, 16
	v_pk_add_f16 v46, v67, v46
	v_pk_fma_f16 v3, v3, 2.0, v25 op_sel_hi:[1,0,1] neg_lo:[0,0,1] neg_hi:[0,0,1]
	v_pk_fma_f16 v26, v26, 2.0, v28 op_sel_hi:[1,0,1] neg_lo:[0,0,1] neg_hi:[0,0,1]
	v_lshrrev_b32_e32 v70, 16, v28
	v_pk_fma_f16 v27, v27, 2.0, v63 op_sel_hi:[1,0,1] neg_lo:[0,0,1] neg_hi:[0,0,1]
	v_pk_add_f16 v65, v63, v65 neg_lo:[0,1] neg_hi:[0,1]
	v_lshrrev_b32_e32 v68, 16, v63
	v_pk_add_f16 v0, v1, v19 neg_lo:[0,1] neg_hi:[0,1]
	v_lshrrev_b32_e32 v66, 16, v57
	s_wait_dscnt 0x2
	v_pk_add_f16 v24, v22, v24 neg_lo:[0,1] neg_hi:[0,1]
	v_pk_add_f16 v23, v21, v23 neg_lo:[0,1] neg_hi:[0,1]
	;; [unrolled: 1-line block ×3, first 2 shown]
	s_wait_dscnt 0x0
	v_pk_add_f16 v31, v29, v31 neg_lo:[0,1] neg_hi:[0,1]
	v_pk_add_f16 v32, v30, v32 neg_lo:[0,1] neg_hi:[0,1]
	v_pk_fma_f16 v22, v22, 2.0, v24 op_sel_hi:[1,0,1] neg_lo:[0,0,1] neg_hi:[0,0,1]
	v_alignbit_b32 v67, s0, v24, 16
	v_pk_add_f16 v24, v69, v24
	v_alignbit_b32 v73, s0, v31, 16
	v_alignbit_b32 v69, s0, v23, 16
	v_alignbit_b32 v72, s0, v32, 16
	v_pk_fma_f16 v29, v29, 2.0, v31 op_sel_hi:[1,0,1] neg_lo:[0,0,1] neg_hi:[0,0,1]
	v_pk_add_f16 v71, v31, v71 neg_lo:[0,1] neg_hi:[0,1]
	v_lshrrev_b32_e32 v74, 16, v31
	v_pk_add_f16 v25, v73, v25
	v_pk_fma_f16 v30, v30, 2.0, v32 op_sel_hi:[1,0,1] neg_lo:[0,0,1] neg_hi:[0,0,1]
	v_pk_fma_f16 v21, v21, 2.0, v23 op_sel_hi:[1,0,1] neg_lo:[0,0,1] neg_hi:[0,0,1]
	v_pk_add_f16 v69, v32, v69 neg_lo:[0,1] neg_hi:[0,1]
	v_lshrrev_b32_e32 v73, 16, v32
	v_pk_add_f16 v23, v72, v23
	v_pk_add_f16 v3, v29, v3 neg_lo:[0,1] neg_hi:[0,1]
	v_fma_f16 v31, v31, 2.0, -v71
	v_fma_f16 v72, v74, 2.0, -v25
	v_pk_add_f16 v67, v28, v67 neg_lo:[0,1] neg_hi:[0,1]
	v_pk_add_f16 v21, v30, v21 neg_lo:[0,1] neg_hi:[0,1]
	v_fma_f16 v32, v32, 2.0, -v69
	v_fma_f16 v73, v73, 2.0, -v23
	v_pk_fma_f16 v29, v29, 2.0, v3 op_sel_hi:[1,0,1] neg_lo:[0,0,1] neg_hi:[0,0,1]
	v_pack_b32_f16 v31, v31, v72
	v_pack_b32_f16 v25, v71, v25
	v_pk_add_f16 v22, v26, v22 neg_lo:[0,1] neg_hi:[0,1]
	v_fma_f16 v28, v28, 2.0, -v67
	v_fma_f16 v70, v70, 2.0, -v24
	;; [unrolled: 1-line block ×4, first 2 shown]
	v_pk_add_f16 v19, v18, v0 op_sel:[0,1] op_sel_hi:[1,0]
	v_fma_f16 v57, v57, 2.0, -v64
	v_fma_f16 v66, v66, 2.0, -v33
	v_pk_fma_f16 v30, v30, 2.0, v21 op_sel_hi:[1,0,1] neg_lo:[0,0,1] neg_hi:[0,0,1]
	global_wb scope:SCOPE_SE
	s_barrier_signal -1
	s_barrier_wait -1
	global_inv scope:SCOPE_SE
	ds_store_2addr_b32 v11, v29, v31 offset1:1
	ds_store_2addr_b32 v11, v3, v25 offset0:2 offset1:3
	v_pack_b32_f16 v3, v32, v73
	v_pack_b32_f16 v11, v69, v23
	v_fma_f16 v53, v53, 2.0, -v54
	v_pk_fma_f16 v26, v26, 2.0, v22 op_sel_hi:[1,0,1] neg_lo:[0,0,1] neg_hi:[0,0,1]
	v_pack_b32_f16 v23, v28, v70
	v_pack_b32_f16 v24, v67, v24
	v_pk_fma_f16 v27, v27, 2.0, v20 op_sel_hi:[1,0,1] neg_lo:[0,0,1] neg_hi:[0,0,1]
	v_pack_b32_f16 v25, v63, v68
	v_pk_add_f16 v9, v18, v0 op_sel:[0,1] op_sel_hi:[1,0] neg_lo:[0,1] neg_hi:[0,1]
	v_pk_fma_f16 v56, v56, 2.0, v62 op_sel_hi:[1,0,1] neg_lo:[0,0,1] neg_hi:[0,0,1]
	v_pack_b32_f16 v28, v65, v46
	v_pack_b32_f16 v29, v57, v66
	;; [unrolled: 1-line block ×3, first 2 shown]
	ds_store_2addr_b32 v34, v30, v3 offset1:1
	ds_store_2addr_b32 v34, v21, v11 offset0:2 offset1:3
	ds_store_2addr_b32 v35, v26, v23 offset1:1
	ds_store_2addr_b32 v35, v22, v24 offset0:2 offset1:3
	;; [unrolled: 2-line block ×4, first 2 shown]
	v_pack_b32_f16 v3, v60, v61
	v_cmp_lt_u32_e64 s0, 41, v4
	v_lshrrev_b32_e32 v11, 16, v19
	v_pack_b32_f16 v20, v58, v52
	v_pack_b32_f16 v21, v48, v53
	;; [unrolled: 1-line block ×5, first 2 shown]
	ds_store_2addr_b32 v5, v59, v3 offset1:1
	ds_store_2addr_b32 v5, v55, v20 offset0:2 offset1:3
	ds_store_2addr_b32 v38, v40, v21 offset1:1
	ds_store_2addr_b32 v38, v51, v22 offset0:2 offset1:3
	;; [unrolled: 2-line block ×3, first 2 shown]
	s_and_saveexec_b32 s1, s0
	s_wait_alu 0xfffe
	s_xor_b32 s0, exec_lo, s1
; %bb.14:
                                        ; implicit-def: $vgpr0_vgpr1
                                        ; implicit-def: $vgpr2_vgpr3
                                        ; implicit-def: $vgpr18
                                        ; implicit-def: $vgpr19
                                        ; implicit-def: $vgpr0
; %bb.15:
	s_wait_alu 0xfffe
	s_and_not1_saveexec_b32 s0, s0
	s_cbranch_execz .LBB0_17
; %bb.16:
	v_pk_fma_f16 v2, v2, 2.0, v18 op_sel_hi:[1,0,1] neg_lo:[0,0,1] neg_hi:[0,0,1]
	v_pk_fma_f16 v0, v1, 2.0, v0 op_sel_hi:[1,0,1] neg_lo:[0,0,1] neg_hi:[0,0,1]
	v_bfi_b32 v1, 0xffff, v9, v19
	v_lshl_add_u32 v3, v12, 4, 0
	s_delay_alu instid0(VALU_DEP_3) | instskip(NEXT) | instid1(VALU_DEP_3)
	v_pk_add_f16 v0, v2, v0 neg_lo:[0,1] neg_hi:[0,1]
	v_pk_fma_f16 v18, v18, 2.0, v1 op_sel_hi:[1,0,1] neg_lo:[0,0,1] neg_hi:[0,0,1]
	s_delay_alu instid0(VALU_DEP_2)
	v_pk_fma_f16 v2, v2, 2.0, v0 op_sel_hi:[1,0,1] neg_lo:[0,0,1] neg_hi:[0,0,1]
	ds_store_2addr_b32 v3, v2, v18 offset1:1
	ds_store_2addr_b32 v3, v0, v1 offset0:2 offset1:3
.LBB0_17:
	s_wait_alu 0xfffe
	s_or_b32 exec_lo, exec_lo, s0
	v_and_b32_e32 v31, 3, v4
	global_wb scope:SCOPE_SE
	s_wait_dscnt 0x0
	s_barrier_signal -1
	s_barrier_wait -1
	global_inv scope:SCOPE_SE
	v_mul_u32_u24_e32 v0, 6, v31
	v_mad_i32_i24 v35, v14, -12, v5
	v_add_nc_u32_e32 v37, 0x800, v47
	v_add_nc_u32_e32 v36, 0x1000, v47
	;; [unrolled: 1-line block ×3, first 2 shown]
	v_lshlrev_b32_e32 v18, 2, v0
	v_add_nc_u32_e32 v30, 0xc00, v47
	v_add_nc_u32_e32 v21, 0x1200, v47
	;; [unrolled: 1-line block ×4, first 2 shown]
	s_clause 0x1
	global_load_b128 v[0:3], v18, s[4:5]
	global_load_b64 v[18:19], v18, s[4:5] offset:16
	ds_load_b32 v34, v47 offset:7616
	ds_load_b32 v33, v47
	ds_load_b32 v107, v35
	ds_load_2addr_b32 v[42:43], v37 offset0:48 offset1:104
	ds_load_2addr_b32 v[44:45], v36 offset0:96 offset1:152
	ds_load_2addr_b32 v[55:56], v20 offset0:80 offset1:136
	ds_load_2addr_b32 v[57:58], v30 offset0:128 offset1:184
	ds_load_2addr_b32 v[59:60], v37 offset0:160 offset1:216
	ds_load_2addr_b32 v[99:100], v21 offset0:80 offset1:136
	ds_load_2addr_b32 v[101:102], v20 offset0:192 offset1:248
	ds_load_2addr_b32 v[103:104], v30 offset0:16 offset1:72
	ds_load_2addr_b32 v[105:106], v32 offset0:112 offset1:168
	ds_load_2addr_b32 v[28:29], v38 offset0:64 offset1:120
	v_lshrrev_b32_e32 v22, 2, v4
	v_add_nc_u32_e32 v39, 0x1800, v47
	v_add_nc_u32_e32 v40, 0x1c00, v47
	v_lshl_add_u32 v51, v8, 2, 0
	v_lshl_add_u32 v50, v17, 2, 0
	v_mul_u32_u24_e32 v41, 28, v22
	ds_load_2addr_b32 v[26:27], v38 offset0:176 offset1:232
	ds_load_2addr_b32 v[24:25], v39 offset0:32 offset1:88
	;; [unrolled: 1-line block ×3, first 2 shown]
	ds_load_2addr_b32 v[20:21], v40 offset1:56
	v_lshl_add_u32 v48, v15, 2, 0
	v_lshl_add_u32 v49, v16, 2, 0
	s_wait_dscnt 0xe
	v_lshrrev_b32_e32 v108, 16, v107
	v_or_b32_e32 v46, v41, v31
	s_wait_dscnt 0xc
	v_lshrrev_b32_e32 v110, 16, v44
	s_wait_dscnt 0xb
	v_lshrrev_b32_e32 v111, 16, v55
	v_lshrrev_b32_e32 v114, 16, v45
	s_wait_dscnt 0xa
	v_lshrrev_b32_e32 v96, 16, v58
	v_lshl_add_u32 v62, v46, 2, 0
	v_lshrrev_b32_e32 v112, 16, v43
	s_wait_dscnt 0x6
	v_lshrrev_b32_e32 v117, 16, v104
	v_lshrrev_b32_e32 v89, 16, v103
	s_wait_dscnt 0x5
	v_lshrrev_b32_e32 v91, 16, v106
	v_lshrrev_b32_e32 v109, 16, v42
	;; [unrolled: 1-line block ×12, first 2 shown]
	ds_load_b32 v63, v51
	ds_load_b32 v54, v50
	;; [unrolled: 1-line block ×4, first 2 shown]
	global_wb scope:SCOPE_SE
	s_wait_loadcnt_dscnt 0x0
	s_barrier_signal -1
	s_barrier_wait -1
	global_inv scope:SCOPE_SE
	v_cmp_gt_u32_e64 s0, 28, v4
	v_lshrrev_b32_e32 v97, 16, v3
	v_lshrrev_b32_e32 v64, 16, v0
	;; [unrolled: 1-line block ×4, first 2 shown]
	s_delay_alu instid0(VALU_DEP_4) | instskip(NEXT) | instid1(VALU_DEP_4)
	v_mul_f16_e32 v61, v110, v97
	v_mul_f16_e32 v76, v111, v64
	;; [unrolled: 1-line block ×8, first 2 shown]
	v_fma_f16 v83, v44, v3, -v61
	v_fma_f16 v78, v45, v3, -v78
	;; [unrolled: 1-line block ×4, first 2 shown]
	v_mul_f16_e32 v44, v117, v52
	v_mul_f16_e32 v45, v89, v46
	;; [unrolled: 1-line block ×9, first 2 shown]
	v_fma_f16 v77, v43, v1, -v72
	v_mul_f16_e32 v43, v92, v46
	v_mul_f16_e32 v61, v93, v64
	v_fma_f16 v86, v104, v2, -v44
	v_fma_f16 v44, v103, v1, -v45
	v_fma_f16 v45, v106, v2, -v58
	v_mul_f16_e32 v58, v90, v97
	v_mul_f16_e32 v69, v56, v64
	;; [unrolled: 1-line block ×3, first 2 shown]
	v_fma_f16 v82, v42, v1, -v53
	v_mul_f16_e32 v118, v94, v97
	v_mul_f16_e32 v72, v99, v97
	;; [unrolled: 1-line block ×3, first 2 shown]
	v_fma_f16 v79, v56, v0, -v79
	v_mul_f16_e32 v98, v88, v64
	v_fma_f16 v81, v57, v2, -v80
	v_mul_f16_e32 v42, v103, v46
	v_fma_f16 v80, v59, v1, -v85
	v_fma_f16 v56, v60, v1, -v43
	v_mul_f16_e32 v46, v95, v52
	v_mul_f16_e32 v60, v101, v64
	v_fma_f16 v61, v101, v0, -v61
	v_mul_f16_e32 v101, v108, v64
	v_fma_f16 v59, v100, v3, -v58
	v_mul_f16_e32 v58, v100, v97
	v_lshrrev_b32_e32 v100, 16, v29
	v_fmac_f16_e32 v75, v109, v1
	v_lshrrev_b32_e32 v109, 16, v28
	v_fmac_f16_e32 v66, v96, v2
	v_lshrrev_b32_e32 v96, 16, v18
	v_mul_f16_e32 v73, v55, v64
	v_mul_f16_e32 v68, v57, v52
	;; [unrolled: 1-line block ×5, first 2 shown]
	v_fma_f16 v57, v105, v2, -v46
	v_fma_f16 v52, v102, v0, -v98
	v_mul_f16_e32 v46, v102, v64
	v_mul_f16_e32 v98, v107, v64
	v_fma_f16 v85, v99, v3, -v118
	v_fma_f16 v99, v107, v0, -v101
	v_lshrrev_b32_e32 v101, 16, v26
	v_lshrrev_b32_e32 v102, 16, v27
	v_lshrrev_b32_e32 v103, 16, v24
	v_lshrrev_b32_e32 v104, 16, v25
	v_lshrrev_b32_e32 v105, 16, v22
	v_fmac_f16_e32 v72, v94, v3
	v_lshrrev_b32_e32 v94, 16, v19
	v_fmac_f16_e32 v60, v93, v0
	v_mul_f16_e32 v93, v28, v97
	v_mul_f16_e32 v97, v109, v97
	v_fmac_f16_e32 v53, v92, v1
	v_mul_f16_e32 v92, v100, v96
	v_fmac_f16_e32 v98, v108, v0
	v_fmac_f16_e32 v74, v110, v3
	;; [unrolled: 1-line block ×6, first 2 shown]
	v_lshrrev_b32_e32 v106, 16, v23
	v_fmac_f16_e32 v71, v114, v3
	v_lshrrev_b32_e32 v107, 16, v20
	v_fmac_f16_e32 v69, v115, v0
	;; [unrolled: 2-line block ×3, first 2 shown]
	v_fmac_f16_e32 v55, v95, v2
	v_mul_f16_e32 v95, v101, v96
	v_fmac_f16_e32 v58, v90, v3
	v_mul_f16_e32 v90, v102, v96
	;; [unrolled: 2-line block ×6, first 2 shown]
	v_fma_f16 v3, v28, v3, -v97
	v_mul_f16_e32 v28, v104, v96
	v_mul_f16_e32 v89, v24, v96
	;; [unrolled: 1-line block ×4, first 2 shown]
	v_fma_f16 v29, v29, v18, -v92
	v_mul_f16_e32 v92, v22, v94
	v_mul_f16_e32 v97, v106, v94
	;; [unrolled: 1-line block ×3, first 2 shown]
	v_fma_f16 v26, v26, v18, -v95
	v_fma_f16 v27, v27, v18, -v90
	v_mul_f16_e32 v90, v107, v94
	v_mul_f16_e32 v95, v108, v94
	v_fma_f16 v24, v24, v18, -v88
	v_fma_f16 v25, v25, v18, -v28
	v_mul_f16_e32 v28, v20, v94
	v_mul_f16_e32 v88, v21, v94
	v_fma_f16 v22, v22, v19, -v96
	v_mul_f16_e32 v96, v65, v94
	v_mul_f16_e32 v94, v34, v94
	v_fmac_f16_e32 v0, v100, v18
	v_fmac_f16_e32 v92, v105, v19
	v_fma_f16 v23, v23, v19, -v97
	v_fma_f16 v20, v20, v19, -v90
	;; [unrolled: 1-line block ×3, first 2 shown]
	v_fmac_f16_e32 v1, v101, v18
	v_fmac_f16_e32 v109, v106, v19
	;; [unrolled: 1-line block ×7, first 2 shown]
	v_fma_f16 v18, v34, v19, -v96
	v_fmac_f16_e32 v94, v65, v19
	v_add_f16_e32 v19, v99, v22
	v_add_f16_e32 v34, v98, v92
	;; [unrolled: 1-line block ×3, first 2 shown]
	v_sub_f16_e32 v29, v82, v29
	v_add_f16_e32 v82, v75, v0
	v_sub_f16_e32 v22, v99, v22
	v_sub_f16_e32 v65, v98, v92
	;; [unrolled: 1-line block ×3, first 2 shown]
	v_add_f16_e32 v75, v86, v83
	v_sub_f16_e32 v83, v83, v86
	v_add_f16_e32 v86, v87, v74
	v_sub_f16_e32 v74, v74, v87
	;; [unrolled: 2-line block ×3, first 2 shown]
	v_add_f16_e32 v84, v73, v109
	v_add_f16_e32 v92, v77, v26
	v_sub_f16_e32 v26, v77, v26
	v_add_f16_e32 v77, v70, v1
	v_sub_f16_e32 v1, v70, v1
	;; [unrolled: 2-line block ×10, first 2 shown]
	v_add_f16_e32 v72, v90, v19
	v_add_f16_e32 v95, v82, v34
	v_lshrrev_b32_e32 v64, 16, v33
	v_sub_f16_e32 v73, v73, v109
	v_sub_f16_e32 v96, v19, v75
	;; [unrolled: 1-line block ×5, first 2 shown]
	v_add_f16_e32 v100, v83, v29
	v_sub_f16_e32 v101, v83, v29
	v_add_f16_e32 v102, v74, v0
	v_sub_f16_e32 v103, v74, v0
	v_sub_f16_e32 v34, v82, v34
	;; [unrolled: 1-line block ×4, first 2 shown]
	v_add_f16_e32 v82, v92, v87
	v_add_f16_e32 v104, v77, v84
	;; [unrolled: 1-line block ×3, first 2 shown]
	v_sub_f16_e32 v107, v78, v26
	v_sub_f16_e32 v26, v26, v23
	v_add_f16_e32 v72, v75, v72
	v_add_f16_e32 v75, v86, v95
	v_lshrrev_b32_e32 v110, 16, v63
	v_sub_f16_e32 v83, v22, v83
	v_sub_f16_e32 v74, v65, v74
	;; [unrolled: 1-line block ×10, first 2 shown]
	v_add_f16_e32 v108, v68, v1
	v_sub_f16_e32 v109, v68, v1
	v_sub_f16_e32 v1, v1, v73
	v_add_f16_e32 v22, v100, v22
	v_mul_f16_e32 v86, 0xb846, v101
	v_add_f16_e32 v65, v102, v65
	v_mul_f16_e32 v95, 0x3a52, v96
	v_mul_f16_e32 v96, 0x3a52, v98
	;; [unrolled: 1-line block ×7, first 2 shown]
	v_add_f16_e32 v70, v70, v82
	v_add_f16_e32 v81, v81, v104
	;; [unrolled: 1-line block ×3, first 2 shown]
	v_mul_f16_e32 v106, 0xb846, v107
	v_mul_f16_e32 v107, 0x3b00, v26
	v_add_f16_e32 v33, v72, v33
	v_add_f16_e32 v64, v75, v64
	v_sub_f16_e32 v68, v73, v68
	v_add_f16_e32 v73, v108, v73
	v_mul_f16_e32 v82, 0x3a52, v87
	v_mul_f16_e32 v87, 0x2b26, v92
	;; [unrolled: 1-line block ×6, first 2 shown]
	v_fmamk_f16 v97, v97, 0x2b26, v95
	v_fma_f16 v100, v19, 0x39e0, -v100
	v_fma_f16 v19, v19, 0xb9e0, -v95
	v_fmamk_f16 v95, v83, 0x3574, v86
	v_fma_f16 v29, v29, 0x3b00, -v86
	v_fmamk_f16 v86, v74, 0x3574, v98
	v_fmamk_f16 v99, v99, 0x2b26, v96
	v_fma_f16 v83, v83, 0xb574, -v101
	v_fma_f16 v0, v0, 0x3b00, -v98
	v_fma_f16 v74, v74, 0xb574, -v102
	v_fma_f16 v98, v34, 0x39e0, -v103
	v_fma_f16 v34, v34, 0xb9e0, -v96
	v_fma_f16 v26, v26, 0x3b00, -v106
	v_fmamk_f16 v96, v78, 0x3574, v106
	v_fma_f16 v78, v78, 0xb574, -v107
	v_add_f16_e32 v63, v63, v70
	v_add_f16_e32 v102, v110, v81
	v_fmamk_f16 v72, v72, 0xbcab, v33
	v_fmamk_f16 v75, v75, 0xbcab, v64
	;; [unrolled: 1-line block ×3, first 2 shown]
	v_fma_f16 v87, v90, 0x39e0, -v87
	v_fma_f16 v82, v90, 0xb9e0, -v82
	v_fmamk_f16 v77, v77, 0x2b26, v84
	v_fma_f16 v90, v105, 0x39e0, -v104
	v_fma_f16 v84, v105, 0xb9e0, -v84
	;; [unrolled: 1-line block ×3, first 2 shown]
	v_fmamk_f16 v101, v68, 0x3574, v108
	v_fma_f16 v68, v68, 0xb574, -v109
	v_pack_b32_f16 v33, v33, v64
	v_fmac_f16_e32 v95, 0x370e, v22
	v_fmac_f16_e32 v86, 0x370e, v65
	v_fmac_f16_e32 v29, 0x370e, v22
	v_fmac_f16_e32 v83, 0x370e, v22
	v_fmac_f16_e32 v0, 0x370e, v65
	v_fmac_f16_e32 v74, 0x370e, v65
	v_fmac_f16_e32 v96, 0x370e, v23
	v_fmac_f16_e32 v26, 0x370e, v23
	v_fmac_f16_e32 v78, 0x370e, v23
	v_fmamk_f16 v22, v70, 0xbcab, v63
	v_fmamk_f16 v23, v81, 0xbcab, v102
	v_add_f16_e32 v64, v97, v72
	v_add_f16_e32 v65, v99, v75
	v_add_f16_e32 v19, v19, v72
	v_add_f16_e32 v34, v34, v75
	v_add_f16_e32 v70, v100, v72
	v_add_f16_e32 v72, v98, v75
	v_fmac_f16_e32 v101, 0x370e, v73
	v_fmac_f16_e32 v1, 0x370e, v73
	;; [unrolled: 1-line block ×3, first 2 shown]
	v_add_f16_e32 v73, v92, v22
	v_add_f16_e32 v75, v87, v22
	;; [unrolled: 1-line block ×7, first 2 shown]
	v_sub_f16_e32 v84, v65, v95
	v_add_f16_e32 v87, v74, v19
	v_sub_f16_e32 v90, v34, v83
	v_sub_f16_e32 v19, v19, v74
	v_add_f16_e32 v34, v83, v34
	v_sub_f16_e32 v92, v70, v0
	v_add_f16_e32 v97, v29, v72
	v_add_f16_e32 v0, v0, v70
	v_sub_f16_e32 v29, v72, v29
	v_sub_f16_e32 v64, v64, v86
	v_add_f16_e32 v65, v95, v65
	v_sub_f16_e32 v70, v75, v1
	v_add_f16_e32 v1, v1, v75
	v_add_f16_e32 v74, v68, v22
	v_sub_f16_e32 v22, v22, v68
	v_sub_f16_e32 v68, v23, v78
	v_add_f16_e32 v23, v78, v23
	v_add_f16_e32 v75, v101, v73
	v_pack_b32_f16 v78, v82, v84
	v_pack_b32_f16 v19, v19, v34
	v_sub_f16_e32 v34, v73, v101
	v_add_f16_e32 v73, v76, v27
	v_add_f16_e32 v72, v26, v81
	v_sub_f16_e32 v26, v81, v26
	v_pack_b32_f16 v81, v87, v90
	v_pack_b32_f16 v82, v92, v97
	v_pack_b32_f16 v0, v0, v29
	v_pack_b32_f16 v29, v64, v65
	ds_store_2addr_b32 v62, v33, v78 offset1:4
	ds_store_2addr_b32 v62, v81, v82 offset0:8 offset1:12
	ds_store_2addr_b32 v62, v0, v19 offset0:16 offset1:20
	ds_store_b32 v62, v29 offset:96
	v_sub_f16_e32 v0, v77, v96
	v_add_f16_e32 v19, v69, v71
	v_add_f16_e32 v29, v96, v77
	v_sub_f16_e32 v33, v69, v71
	v_sub_f16_e32 v62, v71, v67
	;; [unrolled: 1-line block ×8, first 2 shown]
	v_add_f16_e32 v20, v73, v20
	v_add_f16_e32 v73, v66, v2
	;; [unrolled: 1-line block ×4, first 2 shown]
	v_sub_f16_e32 v67, v80, v79
	v_sub_f16_e32 v78, v66, v2
	v_mul_f16_e32 v62, 0x3a52, v62
	v_sub_f16_e32 v66, v28, v66
	v_sub_f16_e32 v2, v2, v28
	v_mul_f16_e32 v79, 0x2b26, v64
	v_add_f16_e32 v28, v73, v28
	v_mul_f16_e32 v69, 0x3a52, v69
	v_mul_f16_e32 v73, 0x2b26, v71
	v_add_f16_e32 v65, v85, v65
	v_fmamk_f16 v64, v64, 0x2b26, v62
	v_fma_f16 v79, v33, 0x39e0, -v79
	v_fma_f16 v33, v33, 0xb9e0, -v62
	v_mul_f16_e32 v62, 0xb846, v77
	v_fmamk_f16 v71, v71, 0x2b26, v69
	v_fma_f16 v73, v67, 0x39e0, -v73
	v_fma_f16 v67, v67, 0xb9e0, -v69
	v_mul_f16_e32 v69, 0x3b00, v27
	v_lshrrev_b32_e32 v77, 16, v54
	v_fma_f16 v27, v27, 0x3b00, -v62
	v_fmamk_f16 v62, v76, 0x3574, v62
	v_add_f16_e32 v54, v54, v19
	v_fma_f16 v69, v76, 0xb574, -v69
	v_add_f16_e32 v76, v77, v65
	v_mul_f16_e32 v78, 0xb846, v78
	v_mul_f16_e32 v77, 0x3b00, v2
	v_fmamk_f16 v19, v19, 0xbcab, v54
	v_fmac_f16_e32 v27, 0x370e, v20
	v_fmamk_f16 v65, v65, 0xbcab, v76
	v_fma_f16 v2, v2, 0x3b00, -v78
	v_fmamk_f16 v78, v66, 0x3574, v78
	v_fma_f16 v66, v66, 0xb574, -v77
	v_add_f16_e32 v64, v64, v19
	v_add_f16_e32 v77, v79, v19
	;; [unrolled: 1-line block ×5, first 2 shown]
	v_fmac_f16_e32 v2, 0x370e, v28
	v_fmac_f16_e32 v78, 0x370e, v28
	;; [unrolled: 1-line block ×4, first 2 shown]
	v_add_f16_e32 v28, v27, v71
	v_sub_f16_e32 v27, v71, v27
	v_lshrrev_b32_e32 v71, 2, v8
	v_fmac_f16_e32 v69, 0x370e, v20
	v_sub_f16_e32 v20, v77, v2
	v_add_f16_e32 v2, v2, v77
	v_sub_f16_e32 v73, v33, v62
	v_mul_lo_u32 v71, v71, 28
	v_add_f16_e32 v33, v62, v33
	v_add_f16_e32 v62, v61, v21
	;; [unrolled: 1-line block ×3, first 2 shown]
	v_sub_f16_e32 v24, v56, v24
	v_pack_b32_f16 v56, v63, v102
	v_pack_b32_f16 v0, v75, v0
	v_add_f16_e32 v65, v67, v65
	v_or_b32_e32 v71, v71, v31
	v_sub_f16_e32 v21, v61, v21
	v_add_f16_e32 v61, v60, v88
	v_add_f16_e32 v75, v57, v59
	v_sub_f16_e32 v57, v59, v57
	v_lshl_add_u32 v63, v71, 2, 0
	v_add_f16_e32 v71, v53, v89
	v_add_f16_e32 v67, v66, v19
	v_sub_f16_e32 v19, v19, v66
	v_sub_f16_e32 v66, v65, v69
	ds_store_2addr_b32 v63, v56, v0 offset1:4
	v_add_f16_e32 v56, v77, v62
	v_add_f16_e32 v65, v69, v65
	;; [unrolled: 1-line block ×3, first 2 shown]
	v_sub_f16_e32 v64, v64, v78
	v_sub_f16_e32 v53, v53, v89
	v_add_f16_e32 v0, v55, v58
	v_sub_f16_e32 v55, v58, v55
	v_sub_f16_e32 v58, v77, v62
	;; [unrolled: 1-line block ×4, first 2 shown]
	v_add_f16_e32 v56, v75, v56
	v_add_f16_e32 v75, v71, v61
	;; [unrolled: 1-line block ×3, first 2 shown]
	v_sub_f16_e32 v60, v60, v88
	v_sub_f16_e32 v77, v71, v61
	v_sub_f16_e32 v61, v61, v0
	v_sub_f16_e32 v71, v0, v71
	v_add_f16_e32 v0, v0, v75
	v_sub_f16_e32 v75, v57, v24
	v_sub_f16_e32 v57, v21, v57
	;; [unrolled: 1-line block ×3, first 2 shown]
	v_add_f16_e32 v21, v78, v21
	v_add_f16_e32 v78, v55, v53
	v_sub_f16_e32 v79, v55, v53
	v_mul_f16_e32 v59, 0x3a52, v59
	v_sub_f16_e32 v55, v60, v55
	v_sub_f16_e32 v53, v53, v60
	v_mul_f16_e32 v80, 0x2b26, v62
	v_add_f16_e32 v60, v78, v60
	v_mul_f16_e32 v61, 0x3a52, v61
	v_mul_f16_e32 v78, 0x2b26, v71
	v_fmamk_f16 v62, v62, 0x2b26, v59
	v_fma_f16 v80, v58, 0x39e0, -v80
	v_fma_f16 v58, v58, 0xb9e0, -v59
	v_mul_f16_e32 v59, 0xb846, v75
	v_fmamk_f16 v71, v71, 0x2b26, v61
	v_fma_f16 v75, v77, 0x39e0, -v78
	v_fma_f16 v61, v77, 0xb9e0, -v61
	v_mul_f16_e32 v77, 0x3b00, v24
	v_lshrrev_b32_e32 v78, 16, v41
	v_fma_f16 v24, v24, 0x3b00, -v59
	v_fmamk_f16 v59, v57, 0x3574, v59
	v_add_f16_e32 v41, v41, v56
	v_mul_f16_e32 v79, 0xb846, v79
	v_fma_f16 v57, v57, 0xb574, -v77
	v_add_f16_e32 v77, v78, v0
	v_mul_f16_e32 v78, 0x3b00, v53
	v_fmamk_f16 v56, v56, 0xbcab, v41
	v_fma_f16 v53, v53, 0x3b00, -v79
	v_fmamk_f16 v79, v55, 0x3574, v79
	v_fmamk_f16 v0, v0, 0xbcab, v77
	v_fma_f16 v55, v55, 0xb574, -v78
	v_add_f16_e32 v62, v62, v56
	v_add_f16_e32 v78, v80, v56
	;; [unrolled: 1-line block ×4, first 2 shown]
	v_fmac_f16_e32 v59, 0x370e, v21
	v_fmac_f16_e32 v55, 0x370e, v60
	v_add_f16_e32 v71, v75, v0
	v_add_f16_e32 v0, v61, v0
	v_fmac_f16_e32 v53, 0x370e, v60
	v_fmac_f16_e32 v24, 0x370e, v21
	;; [unrolled: 1-line block ×4, first 2 shown]
	v_add_f16_e32 v61, v55, v56
	v_sub_f16_e32 v56, v56, v55
	v_sub_f16_e32 v75, v58, v59
	v_add_f16_e32 v58, v59, v58
	v_add_f16_e32 v55, v52, v18
	;; [unrolled: 1-line block ×3, first 2 shown]
	v_sub_f16_e32 v21, v78, v53
	v_add_f16_e32 v53, v53, v78
	v_add_f16_e32 v60, v24, v71
	v_sub_f16_e32 v24, v71, v24
	v_sub_f16_e32 v71, v0, v57
	v_add_f16_e32 v0, v57, v0
	v_add_f16_e32 v57, v79, v62
	v_sub_f16_e32 v62, v62, v79
	v_sub_f16_e32 v18, v52, v18
	v_add_f16_e32 v52, v46, v94
	v_sub_f16_e32 v25, v44, v25
	v_add_f16_e32 v44, v42, v91
	v_add_f16_e32 v78, v45, v3
	v_sub_f16_e32 v3, v3, v45
	v_add_f16_e32 v79, v59, v55
	v_sub_f16_e32 v42, v42, v91
	;; [unrolled: 2-line block ×3, first 2 shown]
	v_sub_f16_e32 v80, v59, v55
	v_sub_f16_e32 v55, v55, v78
	;; [unrolled: 1-line block ×3, first 2 shown]
	v_add_f16_e32 v78, v78, v79
	v_add_f16_e32 v79, v44, v52
	;; [unrolled: 1-line block ×3, first 2 shown]
	v_sub_f16_e32 v46, v46, v94
	v_sub_f16_e32 v81, v44, v52
	;; [unrolled: 1-line block ×4, first 2 shown]
	v_add_f16_e32 v45, v45, v79
	v_sub_f16_e32 v79, v3, v25
	v_sub_f16_e32 v3, v18, v3
	;; [unrolled: 1-line block ×3, first 2 shown]
	v_add_f16_e32 v18, v82, v18
	v_add_f16_e32 v82, v43, v42
	v_sub_f16_e32 v83, v43, v42
	v_mul_f16_e32 v55, 0x3a52, v55
	v_sub_f16_e32 v43, v46, v43
	v_sub_f16_e32 v42, v42, v46
	v_mul_f16_e32 v84, 0x2b26, v59
	v_add_f16_e32 v46, v82, v46
	v_mul_f16_e32 v52, 0x3a52, v52
	v_mul_f16_e32 v82, 0x2b26, v44
	v_fmamk_f16 v59, v59, 0x2b26, v55
	v_fma_f16 v84, v80, 0x39e0, -v84
	v_fma_f16 v55, v80, 0xb9e0, -v55
	v_mul_f16_e32 v79, 0xb846, v79
	v_fmamk_f16 v44, v44, 0x2b26, v52
	v_fma_f16 v80, v81, 0x39e0, -v82
	v_fma_f16 v52, v81, 0xb9e0, -v52
	v_mul_f16_e32 v81, 0x3b00, v25
	v_lshrrev_b32_e32 v82, 16, v40
	v_fma_f16 v25, v25, 0x3b00, -v79
	v_fmamk_f16 v79, v3, 0x3574, v79
	v_add_f16_e32 v40, v40, v78
	v_mul_f16_e32 v83, 0xb846, v83
	v_fma_f16 v3, v3, 0xb574, -v81
	v_add_f16_e32 v81, v82, v45
	v_mul_f16_e32 v82, 0x3b00, v42
	v_fmamk_f16 v78, v78, 0xbcab, v40
	v_fma_f16 v42, v42, 0x3b00, -v83
	v_fmamk_f16 v83, v43, 0x3574, v83
	v_fmamk_f16 v45, v45, 0xbcab, v81
	v_fma_f16 v43, v43, 0xb574, -v82
	v_add_f16_e32 v55, v55, v78
	v_add_f16_e32 v59, v59, v78
	;; [unrolled: 1-line block ×4, first 2 shown]
	v_fmac_f16_e32 v43, 0x370e, v46
	v_add_f16_e32 v78, v80, v45
	v_add_f16_e32 v45, v52, v45
	v_fmac_f16_e32 v25, 0x370e, v18
	v_fmac_f16_e32 v3, 0x370e, v18
	;; [unrolled: 1-line block ×3, first 2 shown]
	v_add_f16_e32 v52, v43, v55
	v_sub_f16_e32 v43, v55, v43
	v_lshrrev_b32_e32 v55, 2, v17
	v_fmac_f16_e32 v42, 0x370e, v46
	v_add_f16_e32 v46, v25, v78
	v_sub_f16_e32 v25, v78, v25
	v_sub_f16_e32 v78, v45, v3
	v_add_f16_e32 v45, v3, v45
	v_add_f16_e32 v80, v83, v59
	v_sub_f16_e32 v3, v59, v83
	v_mul_lo_u32 v59, v55, 28
	v_fmac_f16_e32 v79, 0x370e, v18
	v_sub_f16_e32 v18, v82, v42
	v_add_f16_e32 v42, v42, v82
	v_pack_b32_f16 v1, v1, v26
	v_pack_b32_f16 v22, v22, v23
	v_sub_f16_e32 v82, v44, v79
	v_add_f16_e32 v55, v79, v44
	v_pack_b32_f16 v44, v74, v68
	v_pack_b32_f16 v68, v70, v72
	v_or_b32_e32 v26, v59, v31
	v_pack_b32_f16 v23, v34, v29
	v_lshrrev_b32_e32 v29, 2, v16
	ds_store_2addr_b32 v63, v44, v68 offset0:8 offset1:12
	ds_store_2addr_b32 v63, v1, v22 offset0:16 offset1:20
	ds_store_b32 v63, v23 offset:96
	v_lshl_add_u32 v1, v26, 2, 0
	v_pack_b32_f16 v23, v54, v76
	v_pack_b32_f16 v26, v69, v73
	v_mul_lo_u32 v22, v29, 28
	v_pack_b32_f16 v29, v67, v66
	v_pack_b32_f16 v20, v20, v28
	;; [unrolled: 1-line block ×3, first 2 shown]
	ds_store_2addr_b32 v1, v23, v26 offset1:4
	v_lshrrev_b32_e32 v23, 2, v15
	v_pack_b32_f16 v19, v19, v65
	ds_store_2addr_b32 v1, v29, v20 offset0:8 offset1:12
	ds_store_2addr_b32 v1, v2, v19 offset0:16 offset1:20
	v_mul_lo_u32 v20, v23, 28
	v_or_b32_e32 v22, v22, v31
	v_pack_b32_f16 v2, v64, v33
	v_pack_b32_f16 v23, v57, v75
	;; [unrolled: 1-line block ×4, first 2 shown]
	v_lshl_add_u32 v19, v22, 2, 0
	v_pack_b32_f16 v22, v41, v77
	ds_store_b32 v1, v2 offset:96
	v_or_b32_e32 v1, v20, v31
	v_pack_b32_f16 v24, v53, v24
	v_pack_b32_f16 v0, v56, v0
	ds_store_2addr_b32 v19, v22, v23 offset1:4
	ds_store_2addr_b32 v19, v26, v21 offset0:8 offset1:12
	ds_store_2addr_b32 v19, v24, v0 offset0:16 offset1:20
	v_pack_b32_f16 v0, v62, v58
	v_lshl_add_u32 v1, v1, 2, 0
	v_pack_b32_f16 v2, v40, v81
	v_pack_b32_f16 v20, v80, v82
	;; [unrolled: 1-line block ×7, first 2 shown]
	ds_store_b32 v19, v0 offset:96
	ds_store_2addr_b32 v1, v2, v20 offset1:4
	ds_store_2addr_b32 v1, v21, v18 offset0:8 offset1:12
	ds_store_2addr_b32 v1, v22, v23 offset0:16 offset1:20
	ds_store_b32 v1, v24 offset:96
	v_lshl_add_u32 v54, v13, 2, 0
	v_add_nc_u32_e32 v0, 0x600, v47
	global_wb scope:SCOPE_SE
	s_wait_dscnt 0x0
	s_barrier_signal -1
	s_barrier_wait -1
	global_inv scope:SCOPE_SE
	ds_load_2addr_b32 v[33:34], v32 offset0:84 offset1:140
	ds_load_2addr_b32 v[31:32], v36 offset0:68 offset1:124
	;; [unrolled: 1-line block ×4, first 2 shown]
	v_lshl_add_u32 v53, v10, 2, 0
	v_lshl_add_u32 v52, v12, 2, 0
	ds_load_b32 v61, v51
	ds_load_b32 v60, v50
	;; [unrolled: 1-line block ×8, first 2 shown]
	ds_load_2addr_b32 v[35:36], v38 offset0:148 offset1:204
	ds_load_2addr_b32 v[23:24], v0 offset0:120 offset1:176
	v_add_nc_u32_e32 v0, 0xa00, v47
	v_add_nc_u32_e32 v1, 0x1a00, v47
	ds_load_2addr_b32 v[41:42], v39 offset0:4 offset1:60
	ds_load_2addr_b32 v[25:26], v37 offset0:104 offset1:160
	;; [unrolled: 1-line block ×6, first 2 shown]
	ds_load_b32 v66, v47
	ds_load_u16 v67, v47 offset:3922
	ds_load_b32 v64, v47 offset:7504
	s_and_saveexec_b32 s1, s0
	s_cbranch_execz .LBB0_19
; %bb.18:
	ds_load_b32 v3, v47 offset:3808
	ds_load_b32 v9, v47 offset:7728
	s_wait_dscnt 0x1
	v_lshrrev_b32_e32 v55, 16, v3
	s_wait_dscnt 0x0
	v_lshrrev_b32_e32 v11, 16, v9
.LBB0_19:
	s_wait_alu 0xfffe
	s_or_b32 exec_lo, exec_lo, s1
	v_lshrrev_b16 v18, 2, v17
	v_lshrrev_b16 v0, 2, v8
	v_subrev_nc_u32_e32 v2, 28, v4
	v_mov_b32_e32 v1, 0
	v_lshrrev_b16 v19, 2, v16
	v_and_b32_e32 v18, 63, v18
	v_and_b32_e32 v0, 63, v0
	v_lshrrev_b16 v20, 2, v15
	v_lshrrev_b16 v21, 2, v14
	;; [unrolled: 1-line block ×3, first 2 shown]
	v_mul_lo_u16 v68, v18, 37
	v_mul_lo_u16 v65, v0, 37
	v_cndmask_b32_e64 v0, v2, v4, s0
	v_and_b32_e32 v2, 63, v19
	v_and_b32_e32 v20, 0xffff, v20
	v_and_b32_e32 v21, 0xffff, v21
	v_and_b32_e32 v22, 0xffff, v22
	v_lshrrev_b16 v68, 8, v68
	v_mul_lo_u16 v2, v2, 37
	v_mul_u32_u24_e32 v20, 0x4925, v20
	v_mul_u32_u24_e32 v21, 0x4925, v21
	;; [unrolled: 1-line block ×3, first 2 shown]
	v_mul_lo_u16 v70, v68, 28
	v_lshrrev_b16 v2, 8, v2
	v_lshrrev_b32_e32 v71, 17, v20
	v_add_nc_u16 v77, v4, 0x1f8
	v_lshrrev_b32_e32 v72, 17, v22
	v_sub_nc_u16 v20, v17, v70
	v_lshrrev_b32_e32 v70, 17, v21
	v_mul_lo_u16 v21, v2, 28
	v_mul_lo_u16 v22, v71, 28
	;; [unrolled: 1-line block ×3, first 2 shown]
	v_and_b32_e32 v20, 0xff, v20
	v_mul_lo_u16 v73, v70, 28
	v_add_nc_u16 v78, v4, 0x230
	v_add_nc_u16 v79, v4, 0x268
	v_lshrrev_b16 v76, 2, v12
	v_lshlrev_b32_e32 v75, 2, v20
	v_sub_nc_u16 v20, v16, v21
	v_sub_nc_u16 v21, v15, v22
	v_sub_nc_u16 v22, v14, v73
	v_sub_nc_u16 v73, v13, v74
	v_lshrrev_b16 v74, 2, v10
	v_lshrrev_b16 v80, 2, v77
	;; [unrolled: 1-line block ×4, first 2 shown]
	v_and_b32_e32 v76, 0xffff, v76
	v_and_b32_e32 v74, 0xffff, v74
	;; [unrolled: 1-line block ×5, first 2 shown]
	v_mul_u32_u24_e32 v76, 0x4925, v76
	v_mul_u32_u24_e32 v74, 0x4925, v74
	;; [unrolled: 1-line block ×5, first 2 shown]
	v_lshrrev_b16 v65, 8, v65
	v_lshrrev_b32_e32 v74, 17, v74
	v_lshrrev_b32_e32 v76, 17, v76
	;; [unrolled: 1-line block ×5, first 2 shown]
	v_mul_lo_u16 v69, v65, 28
	v_mul_lo_u16 v83, v74, 28
	;; [unrolled: 1-line block ×6, first 2 shown]
	v_sub_nc_u16 v69, v8, v69
	v_lshlrev_b64_e32 v[18:19], 2, v[0:1]
	v_sub_nc_u16 v83, v10, v83
	v_sub_nc_u16 v84, v12, v84
	;; [unrolled: 1-line block ×5, first 2 shown]
	v_add_nc_u16 v87, v4, 0x2d8
	v_and_b32_e32 v69, 0xff, v69
	v_add_co_u32 v18, s1, s4, v18
	v_and_b32_e32 v83, 0xffff, v83
	v_and_b32_e32 v84, 0xffff, v84
	s_wait_alu 0xf1ff
	v_add_co_ci_u32_e64 v19, s1, s5, v19, s1
	v_and_b32_e32 v77, 0xffff, v77
	v_and_b32_e32 v78, 0xffff, v78
	;; [unrolled: 1-line block ×3, first 2 shown]
	v_lshrrev_b16 v88, 2, v87
	v_add_nc_u16 v89, v4, 0x310
	v_lshlrev_b32_e32 v69, 2, v69
	v_add_nc_u16 v85, v4, 0x2a0
	v_lshlrev_b32_e32 v83, 2, v83
	v_lshlrev_b32_e32 v84, 2, v84
	;; [unrolled: 1-line block ×5, first 2 shown]
	s_clause 0x7
	global_load_b32 v90, v[18:19], off offset:96
	global_load_b32 v91, v69, s[4:5] offset:96
	global_load_b32 v92, v75, s[4:5] offset:96
	;; [unrolled: 1-line block ×7, first 2 shown]
	v_and_b32_e32 v18, 0xffff, v88
	v_lshrrev_b16 v19, 2, v89
	v_add_nc_u16 v88, v4, 0x348
	v_lshrrev_b16 v86, 2, v85
	v_or_b32_e32 v98, 0x380, v4
	v_mul_u32_u24_e32 v18, 0x4925, v18
	v_and_b32_e32 v19, 0xffff, v19
	v_lshrrev_b16 v99, 2, v88
	v_and_b32_e32 v86, 0xffff, v86
	v_lshrrev_b16 v100, 2, v98
	v_lshrrev_b32_e32 v101, 17, v18
	v_mul_u32_u24_e32 v18, 0x4925, v19
	v_and_b32_e32 v19, 0xffff, v99
	v_and_b32_e32 v21, 0xffff, v21
	v_mul_u32_u24_e32 v86, 0x4925, v86
	v_and_b32_e32 v99, 0xffff, v100
	v_and_b32_e32 v20, 0xff, v20
	v_mul_u32_u24_e32 v19, 0x4925, v19
	v_lshlrev_b32_e32 v102, 2, v21
	v_lshrrev_b32_e32 v86, 17, v86
	v_mul_u32_u24_e32 v21, 0x4925, v99
	v_lshrrev_b32_e32 v106, 17, v18
	v_lshrrev_b32_e32 v107, 17, v19
	v_and_b32_e32 v22, 0xffff, v22
	v_mul_lo_u16 v18, v86, 28
	v_lshrrev_b32_e32 v109, 17, v21
	v_mul_lo_u16 v19, v101, 28
	v_and_b32_e32 v73, 0xffff, v73
	v_lshlrev_b32_e32 v103, 2, v20
	v_mul_lo_u16 v20, v106, 28
	v_mul_lo_u16 v21, v107, 28
	v_lshlrev_b32_e32 v100, 2, v22
	v_sub_nc_u16 v18, v85, v18
	v_mul_lo_u16 v22, v109, 28
	v_sub_nc_u16 v19, v87, v19
	v_lshlrev_b32_e32 v73, 2, v73
	v_sub_nc_u16 v20, v89, v20
	v_sub_nc_u16 v21, v88, v21
	v_and_b32_e32 v18, 0xffff, v18
	v_sub_nc_u16 v22, v98, v22
	v_and_b32_e32 v19, 0xffff, v19
	s_clause 0x2
	global_load_b32 v99, v73, s[4:5] offset:96
	global_load_b32 v104, v100, s[4:5] offset:96
	;; [unrolled: 1-line block ×3, first 2 shown]
	v_and_b32_e32 v20, 0xffff, v20
	v_and_b32_e32 v21, 0xffff, v21
	v_lshlrev_b32_e32 v85, 2, v18
	v_and_b32_e32 v18, 0xffff, v22
	global_load_b32 v108, v103, s[4:5] offset:96
	v_lshlrev_b32_e32 v87, 2, v19
	v_lshlrev_b32_e32 v88, 2, v20
	global_load_b32 v98, v85, s[4:5] offset:96
	v_lshlrev_b32_e32 v89, 2, v21
	v_lshlrev_b32_e32 v110, 2, v18
	s_clause 0x3
	global_load_b32 v111, v87, s[4:5] offset:96
	global_load_b32 v112, v88, s[4:5] offset:96
	;; [unrolled: 1-line block ×4, first 2 shown]
	v_mul_u32_u24_e32 v76, 0xe0, v76
	v_and_b32_e32 v68, 0xffff, v68
	v_and_b32_e32 v2, 0xffff, v2
	v_mul_u32_u24_e32 v80, 0xe0, v80
	v_mul_u32_u24_e32 v81, 0xe0, v81
	v_add3_u32 v76, 0, v76, v84
	v_mul_u32_u24_e32 v68, 0xe0, v68
	v_mul_u32_u24_e32 v116, 0xe0, v2
	v_add3_u32 v77, 0, v80, v77
	v_add3_u32 v78, 0, v81, v78
	v_mul_u32_u24_e32 v72, 0xe0, v72
	v_add3_u32 v68, 0, v68, v75
	v_add3_u32 v75, 0, v116, v103
	s_wait_dscnt 0x2
	v_lshrrev_b32_e32 v103, 16, v66
	v_mul_u32_u24_e32 v82, 0xe0, v82
	v_mul_u32_u24_e32 v86, 0xe0, v86
	;; [unrolled: 1-line block ×5, first 2 shown]
	v_cmp_lt_u32_e64 s1, 27, v4
	v_add3_u32 v72, 0, v72, v73
	v_lshrrev_b32_e32 v73, 16, v34
	v_mul_u32_u24_e32 v106, 0xe0, v106
	v_add3_u32 v79, 0, v82, v79
	v_add3_u32 v82, 0, v86, v85
	v_add3_u32 v74, 0, v74, v83
	v_lshrrev_b32_e32 v83, 16, v31
	v_mul_u32_u24_e32 v109, 0xe0, v109
	v_and_b32_e32 v18, 0xffff, v65
	s_wait_alu 0xf1ff
	v_cndmask_b32_e64 v65, 0, 0xe0, s1
	v_lshlrev_b32_e32 v0, 2, v0
	v_mul_u32_u24_e32 v71, 0xe0, v71
	v_mul_u32_u24_e32 v70, 0xe0, v70
	v_add3_u32 v85, 0, v109, v110
	global_wb scope:SCOPE_SE
	s_wait_loadcnt_dscnt 0x0
	v_add3_u32 v0, 0, v65, v0
	v_add3_u32 v71, 0, v71, v102
	v_lshrrev_b32_e32 v102, 16, v61
	v_add3_u32 v70, 0, v70, v100
	v_lshrrev_b32_e32 v100, 16, v60
	s_barrier_signal -1
	s_barrier_wait -1
	global_inv scope:SCOPE_SE
	v_mul_u32_u24_e32 v115, 0xe0, v18
	v_lshlrev_b32_e32 v22, 2, v8
	v_lshlrev_b32_e32 v21, 2, v17
	;; [unrolled: 1-line block ×5, first 2 shown]
	v_add3_u32 v69, 0, v115, v69
	v_lshlrev_b32_e32 v2, 2, v13
	v_mul_i32_i24_e32 v65, -12, v14
	v_lshrrev_b32_e32 v84, 16, v90
	v_lshrrev_b32_e32 v86, 16, v91
	s_delay_alu instid0(VALU_DEP_2)
	v_mul_f16_e32 v80, v67, v84
	v_mul_f16_e32 v81, v84, v33
	v_add3_u32 v84, 0, v101, v87
	v_lshrrev_b32_e32 v87, 16, v92
	v_pk_mul_f16 v101, v44, v93 op_sel:[0,1]
	v_fma_f16 v33, v90, v33, -v80
	v_fmac_f16_e32 v81, v67, v90
	v_add3_u32 v80, 0, v107, v89
	v_add3_u32 v67, 0, v106, v88
	v_pk_mul_f16 v106, v35, v94 op_sel:[0,1]
	v_sub_f16_e32 v33, v66, v33
	v_sub_f16_e32 v81, v103, v81
	s_delay_alu instid0(VALU_DEP_2) | instskip(NEXT) | instid1(VALU_DEP_2)
	v_fma_f16 v66, v66, 2.0, -v33
	v_fma_f16 v103, v103, 2.0, -v81
	v_pack_b32_f16 v33, v33, v81
	v_mul_f16_e32 v81, v86, v73
	v_mul_f16_e32 v86, v86, v34
	s_delay_alu instid0(VALU_DEP_4) | instskip(NEXT) | instid1(VALU_DEP_3)
	v_pack_b32_f16 v66, v66, v103
	v_fma_f16 v34, v91, v34, -v81
	s_delay_alu instid0(VALU_DEP_3) | instskip(SKIP_3) | instid1(VALU_DEP_2)
	v_fmac_f16_e32 v86, v91, v73
	ds_store_2addr_b32 v0, v66, v33 offset1:28
	v_sub_f16_e32 v0, v61, v34
	v_sub_f16_e32 v33, v102, v86
	v_fma_f16 v61, v61, 2.0, -v0
	s_delay_alu instid0(VALU_DEP_2) | instskip(SKIP_4) | instid1(VALU_DEP_3)
	v_fma_f16 v66, v102, 2.0, -v33
	v_pack_b32_f16 v0, v0, v33
	v_pk_mul_f16 v89, v104, v46 op_sel:[0,1]
	v_pk_mul_f16 v90, v105, v45 op_sel:[0,1]
	;; [unrolled: 1-line block ×3, first 2 shown]
	v_pk_fma_f16 v109, v104, v46, v89 op_sel:[0,0,1] op_sel_hi:[1,1,0] neg_lo:[0,0,1] neg_hi:[0,0,1]
	v_pk_mul_f16 v107, v108, v32 op_sel:[0,1]
	v_pk_fma_f16 v46, v104, v46, v89 op_sel:[0,0,1] op_sel_hi:[1,0,0]
	v_pk_fma_f16 v89, v105, v45, v90 op_sel:[0,0,1] op_sel_hi:[1,1,0] neg_lo:[0,0,1] neg_hi:[0,0,1]
	v_pk_fma_f16 v45, v105, v45, v90 op_sel:[0,0,1] op_sel_hi:[1,0,0]
	v_mul_f16_e32 v90, v87, v83
	v_mul_f16_e32 v87, v87, v31
	v_pk_fma_f16 v104, v99, v43, v88 op_sel:[0,0,1] op_sel_hi:[1,1,0] neg_lo:[0,0,1] neg_hi:[0,0,1]
	v_pk_fma_f16 v43, v99, v43, v88 op_sel:[0,0,1] op_sel_hi:[1,0,0]
	v_pk_fma_f16 v88, v44, v93, v101 op_sel:[0,0,1] op_sel_hi:[1,1,0] neg_lo:[0,0,1] neg_hi:[0,0,1]
	v_pk_fma_f16 v44, v44, v93, v101 op_sel:[0,0,1] op_sel_hi:[1,0,0]
	;; [unrolled: 2-line block ×3, first 2 shown]
	v_pk_mul_f16 v94, v36, v95 op_sel:[0,1]
	v_pk_mul_f16 v99, v41, v96 op_sel:[0,1]
	;; [unrolled: 1-line block ×7, first 2 shown]
	v_pk_fma_f16 v91, v108, v32, v107 op_sel:[0,0,1] op_sel_hi:[1,1,0] neg_lo:[0,0,1] neg_hi:[0,0,1]
	v_pk_fma_f16 v32, v108, v32, v107 op_sel:[0,0,1] op_sel_hi:[1,0,0]
	v_pk_mul_f16 v107, v64, v114 op_sel:[0,1]
	v_fma_f16 v31, v92, v31, -v90
	v_fmac_f16_e32 v87, v92, v83
	v_bfi_b32 v45, 0xffff, v89, v45
	v_bfi_b32 v44, 0xffff, v88, v44
	;; [unrolled: 1-line block ×3, first 2 shown]
	v_pk_fma_f16 v83, v36, v95, v94 op_sel:[0,0,1] op_sel_hi:[1,1,0] neg_lo:[0,0,1] neg_hi:[0,0,1]
	v_pk_fma_f16 v36, v36, v95, v94 op_sel:[0,0,1] op_sel_hi:[1,0,0]
	v_pk_fma_f16 v88, v41, v96, v99 op_sel:[0,0,1] op_sel_hi:[1,1,0] neg_lo:[0,0,1] neg_hi:[0,0,1]
	v_pk_fma_f16 v41, v41, v96, v99 op_sel:[0,0,1] op_sel_hi:[1,0,0]
	;; [unrolled: 2-line block ×8, first 2 shown]
	v_sub_f16_e32 v31, v60, v31
	v_sub_f16_e32 v34, v100, v87
	v_bfi_b32 v32, 0xffff, v91, v32
	v_bfi_b32 v46, 0xffff, v109, v46
	;; [unrolled: 1-line block ×3, first 2 shown]
	v_pk_add_f16 v44, v57, v44 neg_lo:[0,1] neg_hi:[0,1]
	v_pk_add_f16 v35, v59, v35 neg_lo:[0,1] neg_hi:[0,1]
	v_bfi_b32 v36, 0xffff, v83, v36
	v_bfi_b32 v41, 0xffff, v88, v41
	;; [unrolled: 1-line block ×8, first 2 shown]
	v_fma_f16 v60, v60, 2.0, -v31
	v_fma_f16 v73, v100, 2.0, -v34
	v_pk_add_f16 v32, v56, v32 neg_lo:[0,1] neg_hi:[0,1]
	v_pk_add_f16 v45, v58, v45 neg_lo:[0,1] neg_hi:[0,1]
	;; [unrolled: 1-line block ×4, first 2 shown]
	v_pack_b32_f16 v31, v31, v34
	v_pk_fma_f16 v33, v57, 2.0, v44 op_sel_hi:[1,0,1] neg_lo:[0,0,1] neg_hi:[0,0,1]
	v_pk_fma_f16 v34, v59, 2.0, v35 op_sel_hi:[1,0,1] neg_lo:[0,0,1] neg_hi:[0,0,1]
	v_pk_add_f16 v36, v23, v36 neg_lo:[0,1] neg_hi:[0,1]
	v_pk_add_f16 v41, v24, v41 neg_lo:[0,1] neg_hi:[0,1]
	;; [unrolled: 1-line block ×8, first 2 shown]
	v_pack_b32_f16 v59, v61, v66
	v_pack_b32_f16 v60, v60, v73
	v_pk_fma_f16 v56, v56, 2.0, v32 op_sel_hi:[1,0,1] neg_lo:[0,0,1] neg_hi:[0,0,1]
	v_pk_fma_f16 v58, v58, 2.0, v45 op_sel_hi:[1,0,1] neg_lo:[0,0,1] neg_hi:[0,0,1]
	;; [unrolled: 1-line block ×12, first 2 shown]
	ds_store_2addr_b32 v69, v59, v0 offset1:28
	ds_store_2addr_b32 v68, v60, v31 offset1:28
	;; [unrolled: 1-line block ×16, first 2 shown]
	s_and_saveexec_b32 s1, s0
	s_cbranch_execz .LBB0_21
; %bb.20:
	v_add_nc_u16 v0, v4, 0x3b8
	s_delay_alu instid0(VALU_DEP_1) | instskip(NEXT) | instid1(VALU_DEP_1)
	v_lshrrev_b16 v23, 2, v0
	v_and_b32_e32 v23, 0xffff, v23
	s_delay_alu instid0(VALU_DEP_1) | instskip(NEXT) | instid1(VALU_DEP_1)
	v_mul_u32_u24_e32 v23, 0x4925, v23
	v_lshrrev_b32_e32 v23, 17, v23
	s_delay_alu instid0(VALU_DEP_1) | instskip(NEXT) | instid1(VALU_DEP_1)
	v_mul_lo_u16 v23, v23, 28
	v_sub_nc_u16 v0, v0, v23
	s_delay_alu instid0(VALU_DEP_1) | instskip(NEXT) | instid1(VALU_DEP_1)
	v_and_b32_e32 v0, 0xffff, v0
	v_lshlrev_b32_e32 v0, 2, v0
	global_load_b32 v23, v0, s[4:5] offset:96
	v_add_nc_u32_e32 v0, 0, v0
	s_delay_alu instid0(VALU_DEP_1) | instskip(SKIP_2) | instid1(VALU_DEP_1)
	v_add_nc_u32_e32 v0, 0x1c00, v0
	s_wait_loadcnt 0x0
	v_lshrrev_b32_e32 v24, 16, v23
	v_mul_f16_e32 v25, v11, v24
	v_mul_f16_e32 v24, v9, v24
	s_delay_alu instid0(VALU_DEP_2) | instskip(NEXT) | instid1(VALU_DEP_2)
	v_fma_f16 v9, v9, v23, -v25
	v_fmac_f16_e32 v24, v11, v23
	s_delay_alu instid0(VALU_DEP_2) | instskip(NEXT) | instid1(VALU_DEP_2)
	v_sub_f16_e32 v9, v3, v9
	v_sub_f16_e32 v11, v55, v24
	s_delay_alu instid0(VALU_DEP_2) | instskip(NEXT) | instid1(VALU_DEP_2)
	v_fma_f16 v3, v3, 2.0, -v9
	v_fma_f16 v23, v55, 2.0, -v11
	v_pack_b32_f16 v9, v9, v11
	s_delay_alu instid0(VALU_DEP_2)
	v_pack_b32_f16 v3, v3, v23
	ds_store_2addr_b32 v0, v3, v9 offset0:112 offset1:140
.LBB0_21:
	s_wait_alu 0xfffe
	s_or_b32 exec_lo, exec_lo, s1
	v_lshrrev_b16 v3, 3, v17
	v_mul_u32_u24_e32 v0, 6, v4
	v_lshrrev_b16 v9, 3, v16
	global_wb scope:SCOPE_SE
	s_wait_dscnt 0x0
	s_barrier_signal -1
	v_and_b32_e32 v3, 31, v3
	v_lshlrev_b32_e32 v0, 2, v0
	s_barrier_wait -1
	global_inv scope:SCOPE_SE
	v_and_b32_e32 v9, 31, v9
	v_mul_lo_u16 v3, v3, 37
	global_load_b128 v[32:35], v0, s[4:5] offset:208
	v_lshrrev_b16 v23, 3, v15
	v_add_nc_u32_e32 v26, 0xc00, v47
	v_mul_lo_u16 v9, v9, 37
	v_lshrrev_b16 v3, 8, v3
	v_add_nc_u32_e32 v25, 0x1400, v47
	v_and_b32_e32 v23, 0xffff, v23
	v_add_nc_u32_e32 v27, 0x1800, v47
	v_lshrrev_b16 v9, 8, v9
	v_mul_lo_u16 v3, v3, 56
	v_add_nc_u32_e32 v29, 0x400, v47
	v_add_nc_u32_e32 v30, 0x1200, v47
	;; [unrolled: 1-line block ×3, first 2 shown]
	v_mul_lo_u16 v9, v9, 56
	v_sub_nc_u16 v3, v17, v3
	s_mov_b32 s2, exec_lo
	s_delay_alu instid0(VALU_DEP_2) | instskip(NEXT) | instid1(VALU_DEP_2)
	v_sub_nc_u16 v9, v16, v9
	v_and_b32_e32 v3, 0xff, v3
	s_delay_alu instid0(VALU_DEP_2) | instskip(NEXT) | instid1(VALU_DEP_2)
	v_and_b32_e32 v28, 0xff, v9
	v_mul_u32_u24_e32 v11, 6, v3
	v_mul_u32_u24_e32 v9, 0x2493, v23
	v_lshl_add_u32 v3, v3, 2, 0
	s_delay_alu instid0(VALU_DEP_4) | instskip(NEXT) | instid1(VALU_DEP_4)
	v_mul_u32_u24_e32 v23, 6, v28
	v_lshlrev_b32_e32 v11, 2, v11
	s_delay_alu instid0(VALU_DEP_4) | instskip(SKIP_1) | instid1(VALU_DEP_4)
	v_lshrrev_b32_e32 v9, 16, v9
	v_lshl_add_u32 v28, v28, 2, 0
	v_lshlrev_b32_e32 v24, 2, v23
	global_load_b128 v[36:39], v11, s[4:5] offset:208
	v_mul_lo_u16 v9, v9, 56
	global_load_b128 v[40:43], v24, s[4:5] offset:208
	v_sub_nc_u16 v9, v15, v9
	s_delay_alu instid0(VALU_DEP_1) | instskip(NEXT) | instid1(VALU_DEP_1)
	v_and_b32_e32 v23, 0xffff, v9
	v_mul_u32_u24_e32 v9, 6, v23
	v_lshl_add_u32 v23, v23, 2, 0
	s_delay_alu instid0(VALU_DEP_2)
	v_lshlrev_b32_e32 v9, 2, v9
	s_clause 0x4
	global_load_b128 v[55:58], v9, s[4:5] offset:208
	global_load_b64 v[44:45], v0, s[4:5] offset:224
	global_load_b64 v[59:60], v11, s[4:5] offset:224
	;; [unrolled: 1-line block ×4, first 2 shown]
	v_add_nc_u32_e32 v24, v5, v65
	v_add_nc_u32_e32 v9, 0x1000, v47
	;; [unrolled: 1-line block ×3, first 2 shown]
	ds_load_b32 v46, v47
	ds_load_b32 v93, v47 offset:7616
	ds_load_b32 v94, v24
	ds_load_2addr_b32 v[65:66], v26 offset0:16 offset1:72
	ds_load_2addr_b32 v[67:68], v9 offset0:96 offset1:152
	;; [unrolled: 1-line block ×3, first 2 shown]
	ds_load_b32 v95, v51
	ds_load_b32 v96, v50
	;; [unrolled: 1-line block ×3, first 2 shown]
	v_add_nc_u32_e32 v5, 0x1c00, v47
	ds_load_2addr_b32 v[71:72], v25 offset0:64 offset1:120
	ds_load_2addr_b32 v[73:74], v27 offset0:144 offset1:200
	ds_load_2addr_b32 v[75:76], v29 offset0:80 offset1:136
	ds_load_2addr_b32 v[77:78], v26 offset0:128 offset1:184
	ds_load_2addr_b32 v[79:80], v25 offset0:176 offset1:232
	ds_load_2addr_b32 v[81:82], v11 offset0:160 offset1:216
	ds_load_2addr_b32 v[83:84], v30 offset0:80 offset1:136
	ds_load_2addr_b32 v[85:86], v5 offset1:56
	ds_load_2addr_b32 v[87:88], v29 offset0:192 offset1:248
	ds_load_2addr_b32 v[89:90], v89 offset0:112 offset1:168
	ds_load_2addr_b32 v[91:92], v27 offset0:32 offset1:88
	ds_load_b32 v30, v48
	global_wb scope:SCOPE_SE
	s_wait_loadcnt_dscnt 0x0
	s_barrier_signal -1
	s_barrier_wait -1
	global_inv scope:SCOPE_SE
	v_lshlrev_b32_e32 v0, 2, v4
	v_lshrrev_b32_e32 v97, 16, v93
	v_lshrrev_b32_e32 v100, 16, v94
	;; [unrolled: 1-line block ×10, first 2 shown]
	s_delay_alu instid0(VALU_DEP_3) | instskip(SKIP_1) | instid1(VALU_DEP_4)
	v_mul_f16_e32 v108, v103, v101
	v_mul_f16_e32 v110, v104, v103
	;; [unrolled: 1-line block ×5, first 2 shown]
	v_fma_f16 v69, v33, v69, -v108
	v_fma_f16 v70, v70, v33, -v110
	v_mul_f16_e32 v108, v102, v94
	v_mul_f16_e32 v110, v67, v106
	v_fma_f16 v67, v67, v35, -v111
	v_lshrrev_b32_e32 v111, 16, v34
	v_mul_f16_e32 v107, v102, v100
	v_mul_f16_e32 v112, v105, v106
	v_fmac_f16_e32 v108, v32, v100
	v_mul_f16_e32 v106, v68, v106
	v_mul_f16_e32 v100, v66, v111
	v_fma_f16 v94, v32, v94, -v107
	v_fma_f16 v68, v68, v35, -v112
	v_lshrrev_b32_e32 v112, 16, v75
	v_lshrrev_b32_e32 v107, 16, v77
	v_fmac_f16_e32 v109, v33, v101
	v_mul_f16_e32 v101, v75, v102
	v_fmac_f16_e32 v100, v98, v34
	v_mul_f16_e32 v98, v98, v111
	v_fmac_f16_e32 v110, v99, v35
	v_lshrrev_b32_e32 v99, 16, v76
	v_mul_f16_e32 v102, v112, v102
	v_fmac_f16_e32 v101, v112, v32
	v_mul_f16_e32 v112, v77, v111
	v_fmac_f16_e32 v103, v104, v33
	v_mul_f16_e32 v104, v107, v111
	v_fma_f16 v66, v66, v34, -v98
	v_lshrrev_b32_e32 v98, 16, v36
	v_lshrrev_b32_e32 v33, 16, v78
	v_fmac_f16_e32 v112, v107, v34
	v_fma_f16 v75, v75, v32, -v102
	v_fma_f16 v77, v77, v34, -v104
	v_lshrrev_b32_e32 v32, 16, v38
	v_mul_f16_e32 v34, v99, v98
	v_fmac_f16_e32 v106, v105, v35
	v_lshrrev_b32_e32 v102, 16, v37
	v_mul_f16_e32 v98, v76, v98
	v_mul_f16_e32 v104, v33, v32
	v_fma_f16 v76, v76, v36, -v34
	v_lshrrev_b32_e32 v34, 16, v83
	v_lshrrev_b32_e32 v105, 16, v39
	v_mul_f16_e32 v107, v78, v32
	v_lshrrev_b32_e32 v35, 16, v81
	v_fma_f16 v78, v78, v38, -v104
	v_mul_f16_e32 v104, v81, v102
	v_lshrrev_b32_e32 v32, 16, v82
	v_fmac_f16_e32 v98, v99, v36
	v_mul_f16_e32 v99, v83, v105
	v_mul_f16_e32 v36, v34, v105
	v_fmac_f16_e32 v107, v33, v38
	v_lshrrev_b32_e32 v33, 16, v41
	v_mul_f16_e32 v102, v35, v102
	v_fmac_f16_e32 v104, v35, v37
	v_lshrrev_b32_e32 v35, 16, v84
	v_fmac_f16_e32 v99, v34, v39
	v_lshrrev_b32_e32 v34, 16, v43
	v_fma_f16 v83, v83, v39, -v36
	v_mul_f16_e32 v36, v32, v33
	v_fma_f16 v81, v81, v37, -v102
	v_mul_f16_e32 v102, v82, v33
	v_mul_f16_e32 v33, v35, v34
	v_lshrrev_b32_e32 v37, 16, v87
	v_fma_f16 v82, v82, v41, -v36
	v_lshrrev_b32_e32 v36, 16, v42
	v_lshrrev_b32_e32 v38, 16, v40
	v_mul_f16_e32 v111, v84, v34
	v_fma_f16 v84, v84, v43, -v33
	v_lshrrev_b32_e32 v33, 16, v89
	v_mul_f16_e32 v113, v89, v36
	v_mul_f16_e32 v105, v87, v38
	;; [unrolled: 1-line block ×3, first 2 shown]
	v_lshrrev_b32_e32 v38, 16, v88
	v_fmac_f16_e32 v102, v32, v41
	v_lshrrev_b32_e32 v39, 16, v65
	v_mul_f16_e32 v32, v33, v36
	v_fmac_f16_e32 v113, v33, v42
	v_lshrrev_b32_e32 v33, 16, v55
	v_lshrrev_b32_e32 v36, 16, v56
	v_fmac_f16_e32 v105, v37, v40
	v_fmac_f16_e32 v111, v35, v43
	v_fma_f16 v40, v87, v40, -v34
	v_fma_f16 v41, v89, v42, -v32
	v_mul_f16_e32 v34, v38, v33
	v_lshrrev_b32_e32 v42, 16, v90
	v_lshrrev_b32_e32 v37, 16, v57
	v_mul_f16_e32 v43, v39, v36
	v_mul_f16_e32 v32, v88, v33
	v_fma_f16 v35, v88, v55, -v34
	v_mul_f16_e32 v33, v65, v36
	v_mul_f16_e32 v88, v42, v37
	v_fma_f16 v36, v65, v56, -v43
	v_lshrrev_b32_e32 v65, 16, v58
	v_mul_f16_e32 v34, v90, v37
	v_lshrrev_b32_e32 v89, 16, v71
	v_fma_f16 v37, v90, v57, -v88
	v_lshrrev_b32_e32 v88, 16, v74
	v_fmac_f16_e32 v33, v39, v56
	v_fmac_f16_e32 v34, v42, v57
	v_mul_f16_e32 v39, v89, v65
	v_lshrrev_b32_e32 v42, 16, v45
	v_lshrrev_b32_e32 v43, 16, v73
	v_fmac_f16_e32 v32, v38, v55
	v_mul_f16_e32 v38, v71, v65
	v_lshrrev_b32_e32 v55, 16, v44
	v_fma_f16 v39, v71, v58, -v39
	v_lshrrev_b32_e32 v57, 16, v79
	v_mul_f16_e32 v71, v88, v42
	v_lshrrev_b32_e32 v87, 16, v72
	v_fmac_f16_e32 v38, v89, v58
	v_mul_f16_e32 v65, v43, v42
	v_mul_f16_e32 v89, v73, v42
	;; [unrolled: 1-line block ×3, first 2 shown]
	v_fma_f16 v71, v74, v45, -v71
	v_mul_f16_e32 v74, v57, v55
	v_mul_f16_e32 v56, v87, v55
	v_lshrrev_b32_e32 v58, 16, v80
	v_fma_f16 v65, v73, v45, -v65
	v_fmac_f16_e32 v89, v43, v45
	v_fma_f16 v74, v79, v44, -v74
	v_fma_f16 v56, v72, v44, -v56
	v_mul_f16_e32 v72, v72, v55
	v_mul_f16_e32 v55, v79, v55
	v_fmac_f16_e32 v42, v88, v45
	v_add_f16_e32 v90, v75, v71
	v_sub_f16_e32 v71, v75, v71
	v_add_f16_e32 v75, v70, v74
	v_sub_f16_e32 v70, v70, v74
	v_lshrrev_b32_e32 v74, 16, v59
	v_lshrrev_b32_e32 v73, 16, v85
	v_fmac_f16_e32 v72, v87, v44
	v_fmac_f16_e32 v55, v57, v44
	v_add_f16_e32 v44, v94, v65
	v_add_f16_e32 v45, v108, v89
	v_sub_f16_e32 v57, v94, v65
	v_sub_f16_e32 v65, v108, v89
	v_add_f16_e32 v94, v101, v42
	v_sub_f16_e32 v42, v101, v42
	v_add_f16_e32 v101, v77, v68
	v_sub_f16_e32 v68, v68, v77
	v_mul_f16_e32 v77, v58, v74
	v_lshrrev_b32_e32 v108, 16, v60
	v_mul_f16_e32 v74, v80, v74
	v_lshrrev_b32_e32 v87, 16, v91
	v_lshrrev_b32_e32 v43, 16, v86
	v_fma_f16 v77, v80, v59, -v77
	v_mul_f16_e32 v80, v85, v108
	v_mul_f16_e32 v108, v73, v108
	v_fmac_f16_e32 v74, v58, v59
	v_lshrrev_b32_e32 v58, 16, v61
	v_add_f16_e32 v79, v69, v56
	v_add_f16_e32 v88, v109, v72
	v_sub_f16_e32 v56, v69, v56
	v_sub_f16_e32 v69, v109, v72
	v_add_f16_e32 v72, v66, v67
	v_add_f16_e32 v89, v100, v110
	v_sub_f16_e32 v66, v67, v66
	v_sub_f16_e32 v67, v110, v100
	v_lshrrev_b32_e32 v110, 16, v62
	v_fmac_f16_e32 v80, v73, v60
	v_fma_f16 v60, v85, v60, -v108
	v_mul_f16_e32 v85, v91, v58
	v_lshrrev_b32_e32 v109, 16, v92
	v_mul_f16_e32 v59, v43, v110
	v_mul_f16_e32 v108, v86, v110
	v_mul_f16_e32 v58, v87, v58
	v_fmac_f16_e32 v85, v87, v61
	v_lshrrev_b32_e32 v87, 16, v63
	v_fma_f16 v59, v86, v62, -v59
	v_fmac_f16_e32 v108, v43, v62
	v_fma_f16 v58, v91, v61, -v58
	v_lshrrev_b32_e32 v62, 16, v64
	v_mul_f16_e32 v61, v109, v87
	v_mul_f16_e32 v87, v92, v87
	v_add_f16_e32 v100, v103, v55
	v_sub_f16_e32 v55, v103, v55
	v_add_f16_e32 v103, v112, v106
	v_sub_f16_e32 v106, v106, v112
	v_fma_f16 v61, v92, v63, -v61
	v_mul_f16_e32 v91, v97, v62
	v_mul_f16_e32 v62, v93, v62
	v_fmac_f16_e32 v87, v109, v63
	v_add_f16_e32 v63, v67, v69
	v_add_f16_e32 v86, v88, v45
	v_sub_f16_e32 v43, v88, v45
	v_sub_f16_e32 v45, v45, v89
	;; [unrolled: 1-line block ×3, first 2 shown]
	v_fma_f16 v91, v93, v64, -v91
	v_fmac_f16_e32 v62, v97, v64
	v_sub_f16_e32 v64, v67, v69
	v_sub_f16_e32 v67, v65, v67
	;; [unrolled: 1-line block ×3, first 2 shown]
	v_add_f16_e32 v109, v100, v94
	v_add_f16_e32 v63, v63, v65
	;; [unrolled: 1-line block ×5, first 2 shown]
	v_sub_f16_e32 v89, v100, v94
	v_sub_f16_e32 v94, v94, v103
	;; [unrolled: 1-line block ×3, first 2 shown]
	v_add_f16_e32 v103, v103, v109
	v_sub_f16_e32 v109, v106, v55
	v_sub_f16_e32 v106, v42, v106
	;; [unrolled: 1-line block ×3, first 2 shown]
	v_mul_f16_e32 v45, 0x3a52, v45
	v_add_f16_e32 v42, v65, v42
	v_mul_f16_e32 v65, 0x2b26, v88
	v_add_f16_e32 v73, v79, v44
	v_sub_f16_e32 v110, v79, v44
	v_sub_f16_e32 v44, v44, v72
	v_sub_f16_e32 v79, v72, v79
	v_sub_f16_e32 v93, v66, v56
	v_sub_f16_e32 v66, v57, v66
	v_sub_f16_e32 v56, v56, v57
	v_add_f16_e32 v97, v75, v90
	v_add_f16_e32 v57, v92, v57
	;; [unrolled: 1-line block ×3, first 2 shown]
	v_mul_f16_e32 v64, 0xb846, v64
	v_fmamk_f16 v88, v88, 0x2b26, v45
	v_fma_f16 v65, v43, 0x39e0, -v65
	v_fma_f16 v43, v43, 0xb9e0, -v45
	v_mul_f16_e32 v45, 0x3b00, v69
	v_add_f16_e32 v72, v72, v73
	v_sub_f16_e32 v73, v75, v90
	v_sub_f16_e32 v90, v90, v101
	;; [unrolled: 1-line block ×3, first 2 shown]
	v_add_f16_e32 v97, v101, v97
	v_sub_f16_e32 v101, v68, v70
	v_sub_f16_e32 v68, v71, v68
	;; [unrolled: 1-line block ×3, first 2 shown]
	v_mul_f16_e32 v44, 0x3a52, v44
	v_add_f16_e32 v71, v92, v71
	v_mul_f16_e32 v92, 0x2b26, v79
	v_fma_f16 v69, v69, 0x3b00, -v64
	v_fmamk_f16 v64, v67, 0x3574, v64
	v_fma_f16 v45, v67, 0xb574, -v45
	v_lshrrev_b32_e32 v67, 16, v46
	v_mul_f16_e32 v93, 0xb846, v93
	v_fmamk_f16 v79, v79, 0x2b26, v44
	v_fma_f16 v92, v110, 0x39e0, -v92
	v_fma_f16 v44, v110, 0xb9e0, -v44
	v_mul_f16_e32 v110, 0x3b00, v56
	v_add_f16_e32 v46, v46, v72
	v_add_f16_e32 v67, v67, v86
	v_mul_f16_e32 v90, 0x3a52, v90
	v_fma_f16 v56, v56, 0x3b00, -v93
	v_fmamk_f16 v93, v66, 0x3574, v93
	v_fma_f16 v66, v66, 0xb574, -v110
	v_mul_f16_e32 v110, 0x2b26, v75
	v_fmamk_f16 v72, v72, 0xbcab, v46
	v_fmamk_f16 v86, v86, 0xbcab, v67
	;; [unrolled: 1-line block ×3, first 2 shown]
	v_fmac_f16_e32 v93, 0x370e, v57
	v_fma_f16 v110, v73, 0x39e0, -v110
	v_fma_f16 v73, v73, 0xb9e0, -v90
	v_lshrrev_b32_e32 v90, 16, v95
	v_fmac_f16_e32 v56, 0x370e, v57
	v_fmac_f16_e32 v66, 0x370e, v57
	;; [unrolled: 1-line block ×5, first 2 shown]
	v_mul_f16_e32 v94, 0x3a52, v94
	v_add_f16_e32 v79, v79, v72
	v_add_f16_e32 v92, v92, v72
	;; [unrolled: 1-line block ×3, first 2 shown]
	v_mul_f16_e32 v72, 0x2b26, v100
	v_add_f16_e32 v65, v65, v86
	v_add_f16_e32 v88, v88, v86
	;; [unrolled: 1-line block ×3, first 2 shown]
	v_mul_f16_e32 v101, 0xb846, v101
	v_mul_f16_e32 v109, 0xb846, v109
	v_sub_f16_e32 v86, v92, v69
	v_add_f16_e32 v69, v69, v92
	v_add_f16_e32 v92, v56, v65
	v_sub_f16_e32 v56, v65, v56
	v_add_f16_e32 v65, v45, v44
	v_sub_f16_e32 v44, v44, v45
	v_sub_f16_e32 v45, v43, v66
	v_add_f16_e32 v43, v66, v43
	v_add_f16_e32 v66, v64, v79
	v_sub_f16_e32 v64, v79, v64
	v_sub_f16_e32 v79, v88, v93
	v_add_f16_e32 v88, v93, v88
	v_mul_f16_e32 v93, 0x3b00, v70
	v_add_f16_e32 v95, v95, v97
	v_add_f16_e32 v90, v90, v103
	v_fmamk_f16 v100, v100, 0x2b26, v94
	v_fma_f16 v72, v89, 0x39e0, -v72
	v_fma_f16 v89, v89, 0xb9e0, -v94
	v_mul_f16_e32 v94, 0x3b00, v55
	v_fmamk_f16 v97, v97, 0xbcab, v95
	v_fmamk_f16 v103, v103, 0xbcab, v90
	v_fma_f16 v70, v70, 0x3b00, -v101
	v_fmamk_f16 v101, v68, 0x3574, v101
	v_fma_f16 v55, v55, 0x3b00, -v109
	;; [unrolled: 2-line block ×3, first 2 shown]
	v_fma_f16 v93, v106, 0xb574, -v94
	v_add_f16_e32 v75, v75, v97
	v_add_f16_e32 v94, v100, v103
	;; [unrolled: 1-line block ×5, first 2 shown]
	v_fmac_f16_e32 v101, 0x370e, v71
	v_fmac_f16_e32 v109, 0x370e, v42
	;; [unrolled: 1-line block ×5, first 2 shown]
	v_add_f16_e32 v100, v110, v97
	v_fmac_f16_e32 v55, 0x370e, v42
	v_add_f16_e32 v42, v109, v75
	v_sub_f16_e32 v71, v94, v101
	v_add_f16_e32 v97, v93, v73
	v_sub_f16_e32 v103, v89, v68
	;; [unrolled: 2-line block ×3, first 2 shown]
	v_sub_f16_e32 v72, v73, v93
	v_add_f16_e32 v68, v68, v89
	v_sub_f16_e32 v73, v75, v109
	v_add_f16_e32 v75, v101, v94
	v_add_f16_e32 v89, v76, v60
	;; [unrolled: 1-line block ×3, first 2 shown]
	v_sub_f16_e32 v60, v76, v60
	v_sub_f16_e32 v76, v98, v80
	v_add_f16_e32 v80, v81, v77
	v_add_f16_e32 v94, v104, v74
	v_sub_f16_e32 v77, v81, v77
	v_sub_f16_e32 v74, v104, v74
	v_add_f16_e32 v81, v78, v83
	v_add_f16_e32 v98, v107, v99
	v_sub_f16_e32 v78, v83, v78
	v_sub_f16_e32 v83, v99, v107
	;; [unrolled: 1-line block ×3, first 2 shown]
	v_add_f16_e32 v55, v55, v100
	v_add_f16_e32 v99, v80, v89
	v_add_f16_e32 v100, v94, v93
	v_sub_f16_e32 v101, v80, v89
	v_sub_f16_e32 v104, v94, v93
	;; [unrolled: 1-line block ×6, first 2 shown]
	v_add_f16_e32 v107, v78, v77
	v_add_f16_e32 v109, v83, v74
	v_lshrrev_b32_e32 v57, 16, v96
	v_add_f16_e32 v81, v81, v99
	v_sub_f16_e32 v99, v78, v77
	v_add_f16_e32 v98, v98, v100
	v_sub_f16_e32 v100, v83, v74
	v_sub_f16_e32 v78, v60, v78
	;; [unrolled: 1-line block ×5, first 2 shown]
	v_add_f16_e32 v60, v107, v60
	v_add_f16_e32 v76, v109, v76
	v_mul_f16_e32 v89, 0x3a52, v89
	v_mul_f16_e32 v93, 0x3a52, v93
	;; [unrolled: 1-line block ×4, first 2 shown]
	v_add_f16_e32 v96, v96, v81
	v_add_f16_e32 v57, v57, v98
	v_mul_f16_e32 v99, 0xb846, v99
	v_mul_f16_e32 v100, 0xb846, v100
	v_fmamk_f16 v80, v80, 0x2b26, v89
	v_fma_f16 v107, v101, 0x39e0, -v107
	v_fma_f16 v89, v101, 0xb9e0, -v89
	v_mul_f16_e32 v101, 0x3b00, v77
	v_fmamk_f16 v94, v94, 0x2b26, v93
	v_fma_f16 v109, v104, 0x39e0, -v109
	v_fma_f16 v93, v104, 0xb9e0, -v93
	v_mul_f16_e32 v104, 0x3b00, v74
	v_fmamk_f16 v81, v81, 0xbcab, v96
	v_fmamk_f16 v98, v98, 0xbcab, v57
	v_fma_f16 v77, v77, 0x3b00, -v99
	v_fmamk_f16 v99, v78, 0x3574, v99
	v_fma_f16 v74, v74, 0x3b00, -v100
	;; [unrolled: 2-line block ×3, first 2 shown]
	v_fma_f16 v83, v83, 0xb574, -v104
	v_add_f16_e32 v80, v80, v81
	v_add_f16_e32 v94, v94, v98
	v_add_f16_e32 v101, v107, v81
	v_add_f16_e32 v81, v89, v81
	v_add_f16_e32 v89, v93, v98
	v_fmac_f16_e32 v99, 0x370e, v60
	v_fmac_f16_e32 v100, 0x370e, v76
	;; [unrolled: 1-line block ×5, first 2 shown]
	v_add_f16_e32 v104, v109, v98
	v_fmac_f16_e32 v77, 0x370e, v60
	v_add_f16_e32 v60, v100, v80
	v_sub_f16_e32 v76, v94, v99
	v_add_f16_e32 v93, v83, v81
	v_sub_f16_e32 v98, v89, v78
	v_sub_f16_e32 v107, v101, v74
	v_add_f16_e32 v74, v74, v101
	v_sub_f16_e32 v81, v81, v83
	v_add_f16_e32 v78, v78, v89
	;; [unrolled: 2-line block ×3, first 2 shown]
	v_add_f16_e32 v89, v40, v59
	v_add_f16_e32 v94, v105, v108
	;; [unrolled: 1-line block ×4, first 2 shown]
	v_sub_f16_e32 v58, v82, v58
	v_sub_f16_e32 v82, v102, v85
	v_add_f16_e32 v85, v41, v84
	v_add_f16_e32 v101, v113, v111
	v_sub_f16_e32 v41, v84, v41
	v_sub_f16_e32 v84, v111, v113
	v_add_f16_e32 v109, v77, v104
	v_sub_f16_e32 v77, v104, v77
	v_sub_f16_e32 v40, v40, v59
	;; [unrolled: 1-line block ×3, first 2 shown]
	v_add_f16_e32 v102, v99, v89
	v_add_f16_e32 v104, v100, v94
	v_sub_f16_e32 v105, v99, v89
	v_sub_f16_e32 v108, v100, v94
	;; [unrolled: 1-line block ×6, first 2 shown]
	v_add_f16_e32 v111, v41, v58
	v_add_f16_e32 v112, v84, v82
	v_lshrrev_b32_e32 v63, 16, v31
	v_add_f16_e32 v85, v85, v102
	v_sub_f16_e32 v102, v41, v58
	v_add_f16_e32 v101, v101, v104
	v_sub_f16_e32 v104, v84, v82
	v_sub_f16_e32 v41, v40, v41
	;; [unrolled: 1-line block ×5, first 2 shown]
	v_add_f16_e32 v40, v111, v40
	v_add_f16_e32 v59, v112, v59
	v_mul_f16_e32 v89, 0x3a52, v89
	v_mul_f16_e32 v94, 0x3a52, v94
	;; [unrolled: 1-line block ×4, first 2 shown]
	v_add_f16_e32 v31, v31, v85
	v_add_f16_e32 v63, v63, v101
	v_mul_f16_e32 v102, 0xb846, v102
	v_mul_f16_e32 v104, 0xb846, v104
	v_fmamk_f16 v99, v99, 0x2b26, v89
	v_fma_f16 v111, v105, 0x39e0, -v111
	v_fma_f16 v89, v105, 0xb9e0, -v89
	v_mul_f16_e32 v105, 0x3b00, v58
	v_fmamk_f16 v100, v100, 0x2b26, v94
	v_fma_f16 v112, v108, 0x39e0, -v112
	v_fma_f16 v94, v108, 0xb9e0, -v94
	v_mul_f16_e32 v108, 0x3b00, v82
	v_fmamk_f16 v85, v85, 0xbcab, v31
	v_fmamk_f16 v101, v101, 0xbcab, v63
	v_fma_f16 v58, v58, 0x3b00, -v102
	v_fmamk_f16 v102, v41, 0x3574, v102
	v_fma_f16 v82, v82, 0x3b00, -v104
	;; [unrolled: 2-line block ×3, first 2 shown]
	v_fma_f16 v84, v84, 0xb574, -v108
	v_add_f16_e32 v99, v99, v85
	v_add_f16_e32 v100, v100, v101
	;; [unrolled: 1-line block ×5, first 2 shown]
	v_fmac_f16_e32 v102, 0x370e, v40
	v_fmac_f16_e32 v104, 0x370e, v59
	;; [unrolled: 1-line block ×4, first 2 shown]
	v_add_f16_e32 v108, v112, v101
	v_fmac_f16_e32 v58, 0x370e, v40
	v_fmac_f16_e32 v82, 0x370e, v59
	v_add_f16_e32 v40, v104, v99
	v_sub_f16_e32 v59, v100, v102
	v_add_f16_e32 v94, v84, v85
	v_sub_f16_e32 v101, v89, v41
	v_sub_f16_e32 v84, v85, v84
	v_add_f16_e32 v41, v41, v89
	v_sub_f16_e32 v85, v99, v104
	v_add_f16_e32 v89, v102, v100
	v_add_f16_e32 v99, v35, v91
	;; [unrolled: 1-line block ×3, first 2 shown]
	v_sub_f16_e32 v32, v32, v62
	v_add_f16_e32 v62, v36, v61
	v_sub_f16_e32 v36, v36, v61
	v_add_f16_e32 v61, v37, v39
	v_sub_f16_e32 v37, v39, v37
	v_sub_f16_e32 v35, v35, v91
	v_add_f16_e32 v91, v33, v87
	v_sub_f16_e32 v33, v33, v87
	v_add_f16_e32 v87, v34, v38
	v_sub_f16_e32 v34, v38, v34
	v_sub_f16_e32 v111, v105, v82
	v_add_f16_e32 v82, v82, v105
	v_add_f16_e32 v38, v62, v99
	v_sub_f16_e32 v102, v62, v99
	v_sub_f16_e32 v99, v99, v61
	;; [unrolled: 1-line block ×3, first 2 shown]
	v_add_f16_e32 v105, v37, v36
	v_add_f16_e32 v112, v58, v108
	v_sub_f16_e32 v58, v108, v58
	v_add_f16_e32 v39, v91, v100
	v_sub_f16_e32 v104, v91, v100
	v_sub_f16_e32 v100, v100, v87
	;; [unrolled: 1-line block ×3, first 2 shown]
	v_add_f16_e32 v108, v34, v33
	v_add_f16_e32 v38, v61, v38
	v_sub_f16_e32 v61, v37, v36
	v_sub_f16_e32 v37, v35, v37
	;; [unrolled: 1-line block ×3, first 2 shown]
	v_add_f16_e32 v35, v105, v35
	v_mul_f16_e32 v99, 0x3a52, v99
	v_mul_f16_e32 v105, 0x2b26, v62
	v_add_f16_e32 v39, v87, v39
	v_sub_f16_e32 v87, v34, v33
	v_sub_f16_e32 v34, v32, v34
	;; [unrolled: 1-line block ×3, first 2 shown]
	v_add_f16_e32 v32, v108, v32
	v_mul_f16_e32 v100, 0x3a52, v100
	v_mul_f16_e32 v108, 0x2b26, v91
	v_fmamk_f16 v62, v62, 0x2b26, v99
	v_fma_f16 v105, v102, 0x39e0, -v105
	v_fma_f16 v99, v102, 0xb9e0, -v99
	v_lshrrev_b32_e32 v102, 16, v30
	v_mul_f16_e32 v61, 0xb846, v61
	v_fmamk_f16 v91, v91, 0x2b26, v100
	v_fma_f16 v108, v104, 0x39e0, -v108
	v_fma_f16 v100, v104, 0xb9e0, -v100
	v_mul_f16_e32 v104, 0x3b00, v36
	v_add_f16_e32 v30, v30, v38
	v_add_f16_e32 v102, v102, v39
	v_mul_f16_e32 v87, 0xb846, v87
	v_fma_f16 v36, v36, 0x3b00, -v61
	v_fmamk_f16 v61, v37, 0x3574, v61
	v_fma_f16 v37, v37, 0xb574, -v104
	v_mul_f16_e32 v104, 0x3b00, v33
	v_fmamk_f16 v38, v38, 0xbcab, v30
	v_fmamk_f16 v39, v39, 0xbcab, v102
	v_fma_f16 v33, v33, 0x3b00, -v87
	v_fmamk_f16 v87, v34, 0x3574, v87
	v_fma_f16 v34, v34, 0xb574, -v104
	v_add_f16_e32 v104, v105, v38
	v_add_f16_e32 v91, v91, v39
	;; [unrolled: 1-line block ×4, first 2 shown]
	v_fmac_f16_e32 v61, 0x370e, v35
	v_fmac_f16_e32 v37, 0x370e, v35
	v_add_f16_e32 v62, v62, v38
	v_add_f16_e32 v38, v99, v38
	v_fmac_f16_e32 v87, 0x370e, v32
	v_fmac_f16_e32 v34, 0x370e, v32
	;; [unrolled: 1-line block ×3, first 2 shown]
	v_sub_f16_e32 v35, v91, v61
	v_sub_f16_e32 v100, v39, v37
	v_add_f16_e32 v37, v37, v39
	v_add_f16_e32 v39, v61, v91
	v_pack_b32_f16 v46, v46, v67
	v_pack_b32_f16 v61, v66, v79
	v_fmac_f16_e32 v33, 0x370e, v32
	v_add_f16_e32 v32, v87, v62
	v_add_f16_e32 v99, v34, v38
	v_sub_f16_e32 v34, v38, v34
	v_sub_f16_e32 v38, v62, v87
	v_pack_b32_f16 v45, v65, v45
	v_pack_b32_f16 v62, v86, v92
	;; [unrolled: 1-line block ×4, first 2 shown]
	v_add_nc_u32_e32 v44, 0x200, v47
	ds_store_2addr_b32 v47, v46, v61 offset1:56
	ds_store_2addr_b32 v47, v45, v62 offset0:112 offset1:168
	ds_store_2addr_b32 v44, v56, v43 offset0:96 offset1:152
	v_pack_b32_f16 v43, v64, v88
	v_pack_b32_f16 v44, v95, v90
	;; [unrolled: 1-line block ×5, first 2 shown]
	v_add_nc_u32_e32 v86, 0x600, v47
	v_pack_b32_f16 v55, v55, v70
	v_pack_b32_f16 v56, v72, v68
	ds_store_2addr_b32 v29, v43, v44 offset0:80 offset1:136
	ds_store_b32 v52, v42
	v_pack_b32_f16 v29, v96, v57
	v_pack_b32_f16 v42, v60, v76
	v_add_nc_u32_e32 v43, 0xc00, v3
	ds_store_2addr_b32 v86, v45, v46 offset0:120 offset1:176
	ds_store_2addr_b32 v11, v55, v56 offset0:104 offset1:160
	v_pack_b32_f16 v44, v93, v98
	v_pack_b32_f16 v45, v107, v109
	;; [unrolled: 1-line block ×4, first 2 shown]
	v_add_nc_u32_e32 v56, 0xe00, v3
	v_sub_f16_e32 v108, v104, v33
	v_add_f16_e32 v33, v33, v104
	v_add_f16_e32 v104, v36, v105
	ds_store_2addr_b32 v43, v29, v42 offset0:16 offset1:72
	v_pack_b32_f16 v29, v31, v63
	v_pack_b32_f16 v31, v40, v59
	v_add_nc_u32_e32 v40, 0x1000, v28
	v_sub_f16_e32 v36, v105, v36
	ds_store_2addr_b32 v43, v44, v45 offset0:128 offset1:184
	ds_store_2addr_b32 v56, v46, v55 offset0:112 offset1:168
	v_pack_b32_f16 v42, v94, v101
	v_pack_b32_f16 v43, v111, v112
	v_add_nc_u32_e32 v44, 0x1400, v28
	v_pack_b32_f16 v45, v82, v58
	v_pack_b32_f16 v41, v84, v41
	;; [unrolled: 1-line block ×3, first 2 shown]
	ds_store_2addr_b32 v40, v29, v31 offset0:152 offset1:208
	ds_store_2addr_b32 v44, v42, v43 offset0:8 offset1:64
	v_pack_b32_f16 v31, v32, v35
	v_add_nc_u32_e32 v32, 0x1800, v23
	v_pack_b32_f16 v35, v99, v100
	v_pack_b32_f16 v40, v108, v104
	;; [unrolled: 1-line block ×5, first 2 shown]
	v_add_nc_u32_e32 v36, 0x1c00, v23
	v_pack_b32_f16 v57, v73, v75
	v_pack_b32_f16 v30, v30, v102
	;; [unrolled: 1-line block ×3, first 2 shown]
	ds_store_2addr_b32 v44, v45, v41 offset0:120 offset1:176
	ds_store_b32 v3, v46 offset:4480
	ds_store_b32 v28, v29 offset:6048
	ds_store_2addr_b32 v32, v30, v31 offset0:32 offset1:88
	v_mov_b32_e32 v3, v1
	ds_store_2addr_b32 v32, v35, v40 offset0:144 offset1:200
	ds_store_2addr_b32 v36, v33, v34 offset1:56
	ds_store_b32 v47, v57 offset:2912
	ds_store_b32 v23, v37 offset:7616
	v_mov_b32_e32 v23, v1
	v_lshlrev_b64_e32 v[28:29], 2, v[0:1]
	global_wb scope:SCOPE_SE
	s_wait_dscnt 0x0
	s_barrier_signal -1
	s_barrier_wait -1
	v_lshlrev_b64_e32 v[22:23], 2, v[22:23]
	global_inv scope:SCOPE_SE
	v_add_co_u32 v28, s1, s4, v28
	s_wait_alu 0xf1ff
	v_add_co_ci_u32_e64 v29, s1, s5, v29, s1
	v_add_co_u32 v22, s1, s4, v22
	s_wait_alu 0xf1ff
	v_add_co_ci_u32_e64 v23, s1, s5, v23, s1
	s_clause 0x1
	global_load_b128 v[29:32], v[28:29], off offset:1552
	global_load_b128 v[33:36], v[22:23], off offset:1552
	v_mov_b32_e32 v22, v1
	s_delay_alu instid0(VALU_DEP_1) | instskip(NEXT) | instid1(VALU_DEP_1)
	v_lshlrev_b64_e32 v[21:22], 2, v[21:22]
	v_add_co_u32 v21, s1, s4, v21
	s_wait_alu 0xf1ff
	s_delay_alu instid0(VALU_DEP_2) | instskip(SKIP_2) | instid1(VALU_DEP_1)
	v_add_co_ci_u32_e64 v22, s1, s5, v22, s1
	global_load_b128 v[37:40], v[21:22], off offset:1552
	v_mov_b32_e32 v21, v1
	v_lshlrev_b64_e32 v[20:21], 2, v[20:21]
	s_delay_alu instid0(VALU_DEP_1) | instskip(SKIP_1) | instid1(VALU_DEP_2)
	v_add_co_u32 v20, s1, s4, v20
	s_wait_alu 0xf1ff
	v_add_co_ci_u32_e64 v21, s1, s5, v21, s1
	global_load_b128 v[41:44], v[20:21], off offset:1552
	v_mov_b32_e32 v20, v1
	s_delay_alu instid0(VALU_DEP_1) | instskip(NEXT) | instid1(VALU_DEP_1)
	v_lshlrev_b64_e32 v[19:20], 2, v[19:20]
	v_add_co_u32 v19, s1, s4, v19
	s_wait_alu 0xf1ff
	s_delay_alu instid0(VALU_DEP_2) | instskip(SKIP_4) | instid1(VALU_DEP_3)
	v_add_co_ci_u32_e64 v20, s1, s5, v20, s1
	global_load_b128 v[55:58], v[19:20], off offset:1552
	v_mov_b32_e32 v19, v1
	v_lshlrev_b64_e32 v[1:2], 2, v[2:3]
	v_add_nc_u32_e32 v3, 0x1600, v47
	v_lshlrev_b64_e32 v[18:19], 2, v[18:19]
	s_delay_alu instid0(VALU_DEP_1) | instskip(SKIP_1) | instid1(VALU_DEP_2)
	v_add_co_u32 v18, s1, s4, v18
	s_wait_alu 0xf1ff
	v_add_co_ci_u32_e64 v19, s1, s5, v19, s1
	v_add_co_u32 v1, s1, s4, v1
	s_wait_alu 0xf1ff
	v_add_co_ci_u32_e64 v2, s1, s5, v2, s1
	s_clause 0x1
	global_load_b128 v[60:63], v[18:19], off offset:1552
	global_load_b128 v[77:80], v[1:2], off offset:1552
	ds_load_2addr_stride64_b32 v[1:2], v47 offset1:7
	ds_load_2addr_b32 v[45:46], v9 offset0:152 offset1:208
	ds_load_2addr_b32 v[64:65], v3 offset0:104 offset1:160
	v_add_nc_u32_e32 v3, 0xa00, v47
	ds_load_b32 v22, v51
	ds_load_2addr_b32 v[66:67], v26 offset0:72 offset1:128
	ds_load_2addr_b32 v[68:69], v3 offset0:88 offset1:144
	;; [unrolled: 1-line block ×3, first 2 shown]
	v_add_nc_u32_e32 v3, 0x1a00, v47
	ds_load_b32 v20, v50
	ds_load_2addr_b32 v[72:73], v86 offset0:120 offset1:176
	ds_load_2addr_b32 v[74:75], v25 offset0:8 offset1:64
	ds_load_b32 v19, v49
	ds_load_2addr_b32 v[83:84], v26 offset0:184 offset1:240
	ds_load_2addr_b32 v[85:86], v3 offset0:72 offset1:128
	;; [unrolled: 3-line block ×3, first 2 shown]
	ds_load_b32 v11, v24
	ds_load_b32 v76, v53
	;; [unrolled: 1-line block ×3, first 2 shown]
	ds_load_2addr_b32 v[93:94], v5 offset0:56 offset1:112
	ds_load_2addr_b32 v[91:92], v9 offset0:40 offset1:96
	global_wb scope:SCOPE_SE
	s_wait_loadcnt_dscnt 0x0
	s_barrier_signal -1
	s_barrier_wait -1
	global_inv scope:SCOPE_SE
	v_lshrrev_b32_e32 v81, 16, v2
	v_lshrrev_b32_e32 v27, 16, v45
	;; [unrolled: 1-line block ×33, first 2 shown]
	s_delay_alu instid0(VALU_DEP_4) | instskip(SKIP_1) | instid1(VALU_DEP_2)
	v_mul_f16_e32 v115, v109, v110
	v_mul_f16_e32 v109, v109, v76
	v_fma_f16 v115, v29, v76, -v115
	v_mul_f16_e32 v76, v114, v116
	v_mul_f16_e32 v114, v114, v69
	s_delay_alu instid0(VALU_DEP_4)
	v_fmac_f16_e32 v109, v29, v110
	v_mul_f16_e32 v110, v45, v5
	v_mul_f16_e32 v5, v27, v5
	v_lshrrev_b32_e32 v29, 16, v35
	v_fmac_f16_e32 v114, v30, v116
	v_mul_f16_e32 v116, v65, v117
	v_fmac_f16_e32 v110, v27, v31
	v_mul_f16_e32 v27, v59, v117
	v_fma_f16 v117, v45, v31, -v5
	v_lshrrev_b32_e32 v5, 16, v33
	v_lshrrev_b32_e32 v31, 16, v34
	v_fmac_f16_e32 v116, v59, v32
	v_fma_f16 v118, v65, v32, -v27
	v_mul_f16_e32 v27, v95, v29
	v_mul_f16_e32 v32, v81, v5
	;; [unrolled: 1-line block ×5, first 2 shown]
	v_fma_f16 v120, v46, v35, -v27
	v_lshrrev_b32_e32 v27, 16, v36
	v_fma_f16 v122, v2, v33, -v32
	v_fma_f16 v124, v66, v34, -v5
	v_lshrrev_b32_e32 v5, 16, v38
	v_mul_f16_e32 v123, v66, v31
	v_mul_f16_e32 v2, v96, v27
	;; [unrolled: 1-line block ×3, first 2 shown]
	v_lshrrev_b32_e32 v27, 16, v37
	v_mul_f16_e32 v29, v98, v5
	v_lshrrev_b32_e32 v31, 16, v40
	v_mul_f16_e32 v127, v67, v5
	v_fmac_f16_e32 v125, v96, v36
	v_mul_f16_e32 v96, v72, v27
	v_fma_f16 v126, v67, v38, -v29
	v_mul_f16_e32 v5, v100, v31
	v_lshrrev_b32_e32 v29, 16, v39
	v_mul_f16_e32 v27, v97, v27
	v_fmac_f16_e32 v96, v97, v37
	v_fmac_f16_e32 v119, v81, v33
	v_fma_f16 v97, v71, v40, -v5
	v_mul_f16_e64 v129, v74, v29
	v_mul_f16_e32 v5, v99, v29
	v_lshrrev_b32_e32 v29, 16, v41
	v_mul_f16_e64 v128, v71, v31
	v_fmac_f16_e32 v127, v98, v38
	v_fmac_f16_e64 v129, v99, v39
	v_fma_f16 v98, v72, v37, -v27
	v_fma_f16 v99, v74, v39, -v5
	v_lshrrev_b32_e32 v5, 16, v42
	v_mul_f16_e32 v27, v101, v29
	v_lshrrev_b32_e32 v31, 16, v43
	v_mul_f16_e32 v81, v73, v29
	v_lshrrev_b32_e32 v29, 16, v44
	v_fmac_f16_e32 v123, v82, v34
	v_fmac_f16_e32 v121, v95, v35
	v_fmac_f16_e64 v128, v100, v40
	v_mul_f16_e32 v35, v102, v5
	v_fma_f16 v100, v73, v41, -v27
	v_mul_f16_e32 v82, v83, v5
	v_mul_f16_e32 v5, v103, v31
	;; [unrolled: 1-line block ×3, first 2 shown]
	v_mul_f16_e64 v130, v85, v29
	v_fmac_f16_e32 v81, v101, v41
	v_fmac_f16_e32 v82, v102, v42
	v_fma_f16 v102, v75, v43, -v5
	v_lshrrev_b32_e32 v5, 16, v55
	v_fma_f16 v85, v85, v44, -v27
	v_lshrrev_b32_e32 v27, 16, v56
	v_fma_f16 v101, v83, v42, -v35
	v_mul_f16_e32 v83, v75, v31
	v_lshrrev_b32_e32 v29, 16, v57
	v_mul_f16_e32 v31, v105, v5
	v_mul_f16_e32 v65, v87, v5
	;; [unrolled: 1-line block ×3, first 2 shown]
	v_lshrrev_b32_e32 v35, 16, v58
	v_mul_f16_e32 v66, v84, v27
	v_fma_f16 v69, v30, v69, -v76
	v_fma_f16 v75, v87, v55, -v31
	;; [unrolled: 1-line block ×3, first 2 shown]
	v_mul_f16_e32 v5, v107, v29
	v_mul_f16_e32 v27, v108, v35
	v_lshrrev_b32_e32 v31, 16, v62
	v_lshrrev_b32_e32 v30, 16, v93
	v_fma_f16 v95, v70, v36, -v2
	v_fma_f16 v73, v89, v57, -v5
	v_lshrrev_b32_e32 v5, 16, v60
	v_fma_f16 v76, v86, v58, -v27
	v_lshrrev_b32_e32 v27, 16, v61
	v_fmac_f16_e64 v130, v104, v44
	v_mul_f16_e32 v67, v89, v29
	v_mul_f16_e32 v70, v86, v35
	;; [unrolled: 1-line block ×4, first 2 shown]
	v_lshrrev_b32_e32 v5, 16, v63
	v_mul_f16_e32 v35, v112, v27
	v_mul_f16_e32 v44, v91, v27
	;; [unrolled: 1-line block ×3, first 2 shown]
	v_lshrrev_b32_e32 v32, 16, v68
	v_lshrrev_b32_e32 v33, 16, v92
	v_fmac_f16_e32 v65, v105, v55
	v_fmac_f16_e32 v70, v108, v58
	v_fma_f16 v59, v88, v60, -v29
	v_mul_f16_e32 v45, v90, v31
	v_mul_f16_e32 v29, v30, v5
	v_fma_f16 v58, v90, v62, -v27
	v_mul_f16_e32 v55, v93, v5
	v_lshrrev_b32_e32 v5, 16, v77
	v_lshrrev_b32_e32 v27, 16, v78
	;; [unrolled: 1-line block ×3, first 2 shown]
	v_fmac_f16_e32 v66, v106, v56
	v_fma_f16 v56, v91, v61, -v35
	v_fmac_f16_e32 v45, v113, v62
	v_fma_f16 v62, v93, v63, -v29
	v_fmac_f16_e32 v55, v30, v63
	v_lshrrev_b32_e32 v30, 16, v79
	v_mul_f16_e32 v31, v32, v5
	v_mul_f16_e32 v5, v68, v5
	;; [unrolled: 1-line block ×4, first 2 shown]
	v_lshrrev_b32_e32 v38, 16, v94
	v_lshrrev_b32_e32 v39, 16, v80
	v_fma_f16 v36, v68, v77, -v31
	v_fmac_f16_e32 v5, v32, v77
	v_fma_f16 v31, v92, v78, -v35
	v_fmac_f16_e32 v29, v33, v78
	v_add_f16_e32 v27, v69, v117
	v_mul_f16_e32 v33, v34, v30
	v_mul_f16_e32 v32, v64, v30
	v_add_f16_e32 v35, v1, v115
	v_fmac_f16_e32 v67, v107, v57
	v_mul_f16_e32 v30, v38, v39
	v_fma_f16 v27, -0.5, v27, v1
	v_sub_f16_e32 v42, v109, v116
	v_fma_f16 v37, v64, v79, -v33
	v_fmac_f16_e32 v32, v34, v79
	v_add_f16_e32 v33, v35, v69
	v_sub_f16_e32 v34, v115, v69
	v_sub_f16_e32 v46, v118, v117
	v_add_f16_e32 v57, v115, v118
	v_mul_f16_e32 v35, v94, v39
	v_fmac_f16_e32 v83, v103, v43
	v_fmac_f16_e32 v41, v111, v60
	v_fma_f16 v40, v94, v80, -v30
	v_fmamk_f16 v30, v42, 0x3b9c, v27
	v_sub_f16_e32 v43, v114, v110
	v_add_f16_e32 v33, v33, v117
	v_add_f16_e32 v39, v34, v46
	v_fmac_f16_e32 v1, -0.5, v57
	v_fmac_f16_e32 v35, v38, v80
	v_fmac_f16_e32 v27, 0xbb9c, v42
	v_sub_f16_e32 v38, v69, v115
	v_sub_f16_e32 v46, v117, v118
	v_add_f16_e32 v57, v28, v109
	v_add_f16_e32 v60, v114, v110
	v_fmac_f16_e32 v30, 0x38b4, v43
	v_add_f16_e32 v34, v33, v118
	v_fmamk_f16 v33, v43, 0xbb9c, v1
	v_fmac_f16_e32 v27, 0xb8b4, v43
	v_add_f16_e32 v46, v38, v46
	v_fmac_f16_e32 v1, 0x3b9c, v43
	v_add_f16_e32 v43, v57, v114
	v_fma_f16 v38, -0.5, v60, v28
	v_sub_f16_e32 v60, v115, v118
	v_fmac_f16_e32 v44, v112, v61
	v_fmac_f16_e32 v30, 0x34f2, v39
	;; [unrolled: 1-line block ×5, first 2 shown]
	v_add_f16_e32 v42, v43, v110
	v_fmamk_f16 v39, v60, 0xbb9c, v38
	v_add_f16_e32 v43, v109, v116
	v_sub_f16_e32 v57, v69, v117
	v_sub_f16_e32 v61, v109, v114
	;; [unrolled: 1-line block ×3, first 2 shown]
	v_fmac_f16_e32 v38, 0x3b9c, v60
	v_fmac_f16_e32 v33, 0x34f2, v46
	;; [unrolled: 1-line block ×3, first 2 shown]
	v_fmac_f16_e32 v28, -0.5, v43
	v_fmac_f16_e32 v39, 0xb8b4, v57
	v_add_f16_e32 v61, v61, v63
	v_sub_f16_e32 v46, v114, v109
	v_sub_f16_e32 v63, v110, v116
	v_add_f16_e32 v64, v124, v120
	v_fmac_f16_e32 v38, 0x38b4, v57
	v_add_f16_e32 v68, v22, v122
	v_fmamk_f16 v43, v57, 0x3b9c, v28
	v_fmac_f16_e32 v39, 0x34f2, v61
	v_add_f16_e32 v63, v46, v63
	v_fma_f16 v46, -0.5, v64, v22
	v_sub_f16_e32 v64, v119, v125
	v_fmac_f16_e32 v38, 0x34f2, v61
	v_fmac_f16_e32 v28, 0xbb9c, v57
	v_add_f16_e32 v61, v68, v124
	v_add_f16_e32 v74, v122, v95
	v_fmac_f16_e32 v43, 0xb8b4, v60
	v_fmamk_f16 v57, v64, 0x3b9c, v46
	v_sub_f16_e32 v68, v123, v121
	v_sub_f16_e32 v69, v122, v124
	;; [unrolled: 1-line block ×3, first 2 shown]
	v_fmac_f16_e32 v28, 0x38b4, v60
	v_add_f16_e32 v60, v61, v120
	v_fmac_f16_e32 v22, -0.5, v74
	v_fmac_f16_e32 v46, 0xbb9c, v64
	v_fmac_f16_e32 v43, 0x34f2, v63
	;; [unrolled: 1-line block ×3, first 2 shown]
	v_add_f16_e32 v69, v69, v71
	v_fmac_f16_e32 v28, 0x34f2, v63
	v_add_f16_e32 v61, v60, v95
	v_fmamk_f16 v60, v68, 0xbb9c, v22
	v_sub_f16_e32 v63, v124, v122
	v_sub_f16_e32 v71, v120, v95
	v_fmac_f16_e32 v46, 0xb8b4, v68
	v_add_f16_e32 v77, v123, v121
	v_fmac_f16_e32 v22, 0x3b9c, v68
	v_fmac_f16_e32 v57, 0x34f2, v69
	v_add_f16_e32 v74, v26, v119
	v_fmac_f16_e32 v60, 0x38b4, v64
	v_add_f16_e32 v71, v63, v71
	v_fma_f16 v63, -0.5, v77, v26
	v_sub_f16_e32 v77, v122, v95
	v_fmac_f16_e32 v46, 0x34f2, v69
	v_fmac_f16_e32 v22, 0xb8b4, v64
	v_add_f16_e32 v69, v119, v125
	v_sub_f16_e32 v78, v119, v123
	v_sub_f16_e32 v79, v125, v121
	v_add_f16_e32 v68, v74, v123
	v_fmac_f16_e32 v60, 0x34f2, v71
	v_fmamk_f16 v64, v77, 0xbb9c, v63
	v_sub_f16_e32 v74, v124, v120
	v_fmac_f16_e32 v22, 0x34f2, v71
	v_fmac_f16_e32 v26, -0.5, v69
	v_add_f16_e32 v78, v78, v79
	v_fmac_f16_e32 v63, 0x3b9c, v77
	v_sub_f16_e32 v71, v123, v119
	v_sub_f16_e32 v79, v121, v125
	v_add_f16_e32 v80, v126, v99
	v_fmac_f16_e32 v64, 0xb8b4, v74
	v_fmamk_f16 v69, v74, 0x3b9c, v26
	v_fmac_f16_e32 v63, 0x38b4, v74
	v_add_f16_e32 v79, v71, v79
	v_add_f16_e32 v84, v20, v98
	v_fma_f16 v71, -0.5, v80, v20
	v_sub_f16_e64 v80, v96, v128
	v_fmac_f16_e32 v26, 0xbb9c, v74
	v_fmac_f16_e32 v64, 0x34f2, v78
	;; [unrolled: 1-line block ×4, first 2 shown]
	v_add_f16_e32 v78, v84, v126
	v_fmamk_f16 v74, v80, 0x3b9c, v71
	v_sub_f16_e64 v84, v127, v129
	v_sub_f16_e32 v86, v98, v126
	v_sub_f16_e32 v87, v97, v99
	v_add_f16_e32 v88, v98, v97
	v_fmac_f16_e32 v26, 0x38b4, v77
	v_fmac_f16_e32 v71, 0xbb9c, v80
	;; [unrolled: 1-line block ×3, first 2 shown]
	v_add_f16_e32 v77, v78, v99
	v_fmac_f16_e32 v74, 0x38b4, v84
	v_add_f16_e32 v86, v86, v87
	v_fmac_f16_e32 v20, -0.5, v88
	v_fmac_f16_e32 v26, 0x34f2, v79
	v_sub_f16_e32 v79, v126, v98
	v_sub_f16_e32 v87, v99, v97
	v_fmac_f16_e32 v71, 0xb8b4, v84
	v_add_f16_e32 v88, v25, v96
	v_add_f16_e64 v89, v127, v129
	v_add_f16_e32 v78, v77, v97
	v_fmac_f16_e32 v74, 0x34f2, v86
	v_fmamk_f16 v77, v84, 0xbb9c, v20
	v_add_f16_e32 v87, v79, v87
	v_fmac_f16_e32 v20, 0x3b9c, v84
	v_add_f16_e32 v84, v88, v127
	v_fma_f16 v79, -0.5, v89, v25
	v_sub_f16_e32 v88, v98, v97
	v_fmac_f16_e32 v71, 0x34f2, v86
	v_add_f16_e64 v86, v96, v128
	v_sub_f16_e32 v90, v96, v127
	v_sub_f16_e64 v91, v128, v129
	v_fmac_f16_e32 v77, 0x38b4, v80
	v_fmac_f16_e32 v20, 0xb8b4, v80
	v_fmamk_f16 v80, v88, 0xbb9c, v79
	v_sub_f16_e32 v89, v126, v99
	v_fmac_f16_e32 v25, -0.5, v86
	v_add_f16_e32 v86, v90, v91
	v_fmac_f16_e32 v79, 0x3b9c, v88
	v_sub_f16_e32 v90, v127, v96
	v_sub_f16_e64 v91, v129, v128
	v_fmac_f16_e32 v77, 0x34f2, v87
	v_fmac_f16_e32 v20, 0x34f2, v87
	;; [unrolled: 1-line block ×3, first 2 shown]
	v_fmamk_f16 v87, v89, 0x3b9c, v25
	v_add_f16_e32 v92, v101, v102
	v_fmac_f16_e32 v79, 0x38b4, v89
	v_add_f16_e32 v90, v90, v91
	v_add_f16_e32 v91, v19, v100
	v_fmac_f16_e32 v25, 0xbb9c, v89
	v_add_f16_e32 v96, v100, v85
	v_fmac_f16_e32 v80, 0x34f2, v86
	v_fmac_f16_e32 v87, 0xb8b4, v88
	v_fma_f16 v92, -0.5, v92, v19
	v_sub_f16_e64 v93, v81, v130
	v_fmac_f16_e32 v79, 0x34f2, v86
	v_add_f16_e32 v86, v91, v101
	v_sub_f16_e32 v91, v82, v83
	v_sub_f16_e32 v94, v100, v101
	;; [unrolled: 1-line block ×3, first 2 shown]
	v_fmac_f16_e32 v25, 0x38b4, v88
	v_fmac_f16_e32 v19, -0.5, v96
	v_fmac_f16_e32 v87, 0x34f2, v90
	v_fmamk_f16 v89, v93, 0x3b9c, v92
	v_add_f16_e32 v86, v86, v102
	v_add_f16_e32 v88, v94, v95
	v_fmac_f16_e32 v25, 0x34f2, v90
	v_fmac_f16_e32 v92, 0xbb9c, v93
	v_fmamk_f16 v90, v91, 0xbb9c, v19
	v_sub_f16_e32 v94, v101, v100
	v_sub_f16_e32 v95, v102, v85
	v_add_f16_e32 v96, v23, v81
	v_add_f16_e32 v97, v82, v83
	v_fmac_f16_e32 v19, 0x3b9c, v91
	v_fmac_f16_e32 v89, 0x38b4, v91
	v_add_f16_e32 v86, v86, v85
	v_fmac_f16_e32 v92, 0xb8b4, v91
	v_fmac_f16_e32 v90, 0x38b4, v93
	v_add_f16_e32 v94, v94, v95
	v_add_f16_e32 v91, v96, v82
	v_fma_f16 v95, -0.5, v97, v23
	v_sub_f16_e32 v85, v100, v85
	v_fmac_f16_e32 v19, 0xb8b4, v93
	v_add_f16_e64 v93, v81, v130
	v_sub_f16_e32 v97, v81, v82
	v_sub_f16_e32 v81, v82, v81
	v_sub_f16_e64 v82, v83, v130
	v_fmac_f16_e32 v89, 0x34f2, v88
	v_fmac_f16_e32 v92, 0x34f2, v88
	v_add_f16_e32 v88, v91, v83
	v_fmamk_f16 v91, v85, 0xbb9c, v95
	v_sub_f16_e32 v96, v101, v102
	v_sub_f16_e64 v98, v130, v83
	v_fmac_f16_e32 v23, -0.5, v93
	v_fmac_f16_e32 v95, 0x3b9c, v85
	v_add_f16_e32 v83, v72, v73
	v_add_f16_e32 v81, v81, v82
	;; [unrolled: 1-line block ×3, first 2 shown]
	v_fmac_f16_e32 v90, 0x34f2, v94
	v_fmac_f16_e32 v19, 0x34f2, v94
	;; [unrolled: 1-line block ×3, first 2 shown]
	v_add_f16_e32 v93, v97, v98
	v_fmamk_f16 v94, v96, 0x3b9c, v23
	v_fmac_f16_e32 v95, 0x38b4, v96
	v_fma_f16 v83, -0.5, v83, v18
	v_sub_f16_e32 v97, v65, v70
	v_fmac_f16_e32 v23, 0xbb9c, v96
	v_add_f16_e32 v82, v82, v72
	v_add_f16_e32 v100, v75, v76
	v_fmac_f16_e32 v91, 0x34f2, v93
	v_fmac_f16_e32 v94, 0xb8b4, v85
	;; [unrolled: 1-line block ×3, first 2 shown]
	v_fmamk_f16 v93, v97, 0x3b9c, v83
	v_sub_f16_e32 v96, v66, v67
	v_sub_f16_e32 v98, v75, v72
	;; [unrolled: 1-line block ×3, first 2 shown]
	v_fmac_f16_e32 v23, 0x38b4, v85
	v_add_f16_e32 v82, v82, v73
	v_fmac_f16_e32 v18, -0.5, v100
	v_fmac_f16_e32 v83, 0xbb9c, v97
	v_add_f16_e32 v100, v21, v65
	v_fmac_f16_e32 v94, 0x34f2, v81
	v_fmac_f16_e32 v93, 0x38b4, v96
	v_add_f16_e32 v85, v98, v99
	v_fmac_f16_e32 v23, 0x34f2, v81
	v_add_f16_e32 v81, v82, v76
	v_fmamk_f16 v82, v96, 0xbb9c, v18
	v_sub_f16_e32 v98, v72, v75
	v_sub_f16_e32 v99, v73, v76
	v_fmac_f16_e32 v83, 0xb8b4, v96
	v_add_f16_e32 v101, v66, v67
	v_fmac_f16_e32 v18, 0x3b9c, v96
	v_add_f16_e32 v96, v100, v66
	v_add_f16_e32 v98, v98, v99
	v_sub_f16_e32 v75, v75, v76
	v_fma_f16 v99, -0.5, v101, v21
	v_sub_f16_e32 v72, v72, v73
	v_add_f16_e32 v76, v96, v67
	v_add_f16_e32 v96, v65, v70
	v_sub_f16_e32 v73, v65, v66
	v_sub_f16_e32 v65, v66, v65
	;; [unrolled: 1-line block ×3, first 2 shown]
	v_fmac_f16_e32 v93, 0x34f2, v85
	v_fmac_f16_e32 v82, 0x38b4, v97
	;; [unrolled: 1-line block ×4, first 2 shown]
	v_fmamk_f16 v85, v75, 0xbb9c, v99
	v_sub_f16_e32 v97, v70, v67
	v_fmac_f16_e32 v21, -0.5, v96
	v_fmac_f16_e32 v99, 0x3b9c, v75
	v_add_f16_e32 v67, v56, v58
	v_add_f16_e32 v65, v65, v66
	;; [unrolled: 1-line block ×4, first 2 shown]
	v_fmac_f16_e32 v85, 0xb8b4, v72
	v_add_f16_e32 v73, v73, v97
	v_fmamk_f16 v96, v72, 0x3b9c, v21
	v_fmac_f16_e32 v99, 0x38b4, v72
	v_fma_f16 v67, -0.5, v67, v11
	v_sub_f16_e32 v70, v41, v55
	v_fmac_f16_e32 v21, 0xbb9c, v72
	v_add_f16_e32 v66, v66, v56
	v_add_f16_e32 v100, v59, v62
	v_fmac_f16_e32 v82, 0x34f2, v98
	v_fmac_f16_e32 v18, 0x34f2, v98
	;; [unrolled: 1-line block ×5, first 2 shown]
	v_fmamk_f16 v72, v70, 0x3b9c, v67
	v_sub_f16_e32 v73, v44, v45
	v_sub_f16_e32 v97, v59, v56
	;; [unrolled: 1-line block ×3, first 2 shown]
	v_fmac_f16_e32 v21, 0x38b4, v75
	v_add_f16_e32 v66, v66, v58
	v_fmac_f16_e32 v11, -0.5, v100
	v_fmac_f16_e32 v67, 0xbb9c, v70
	v_add_f16_e32 v100, v9, v41
	v_fmac_f16_e32 v96, 0x34f2, v65
	v_fmac_f16_e32 v72, 0x38b4, v73
	v_add_f16_e32 v75, v97, v98
	v_fmac_f16_e32 v21, 0x34f2, v65
	v_add_f16_e32 v65, v66, v62
	v_fmamk_f16 v66, v73, 0xbb9c, v11
	v_sub_f16_e32 v97, v56, v59
	v_sub_f16_e32 v98, v58, v62
	v_fmac_f16_e32 v67, 0xb8b4, v73
	v_add_f16_e32 v101, v44, v45
	v_fmac_f16_e32 v11, 0x3b9c, v73
	v_add_f16_e32 v73, v100, v44
	v_add_f16_e32 v97, v97, v98
	v_sub_f16_e32 v59, v59, v62
	v_fma_f16 v98, -0.5, v101, v9
	v_fmac_f16_e32 v72, 0x34f2, v75
	v_add_f16_e32 v62, v73, v45
	v_add_f16_e32 v73, v41, v55
	v_fmac_f16_e32 v66, 0x38b4, v70
	v_fmac_f16_e32 v67, 0x34f2, v75
	;; [unrolled: 1-line block ×3, first 2 shown]
	v_fmamk_f16 v70, v59, 0xbb9c, v98
	v_sub_f16_e32 v56, v56, v58
	v_sub_f16_e32 v58, v41, v44
	;; [unrolled: 1-line block ×3, first 2 shown]
	v_fmac_f16_e32 v9, -0.5, v73
	v_fmac_f16_e32 v98, 0x3b9c, v59
	v_sub_f16_e32 v41, v44, v41
	v_sub_f16_e32 v44, v45, v55
	v_add_f16_e32 v45, v31, v37
	v_add_f16_e32 v62, v62, v55
	v_fmac_f16_e32 v70, 0xb8b4, v56
	v_add_f16_e32 v58, v58, v75
	v_fmamk_f16 v73, v56, 0x3b9c, v9
	v_fmac_f16_e32 v98, 0x38b4, v56
	v_add_f16_e32 v41, v41, v44
	v_fmac_f16_e32 v9, 0xbb9c, v56
	v_add_f16_e32 v44, v3, v36
	v_fma_f16 v45, -0.5, v45, v3
	v_sub_f16_e32 v55, v5, v35
	v_fmac_f16_e32 v66, 0x34f2, v97
	v_fmac_f16_e32 v11, 0x34f2, v97
	;; [unrolled: 1-line block ×6, first 2 shown]
	v_add_f16_e32 v44, v44, v31
	v_fmamk_f16 v56, v55, 0x3b9c, v45
	v_sub_f16_e32 v58, v29, v32
	v_sub_f16_e32 v59, v36, v31
	;; [unrolled: 1-line block ×3, first 2 shown]
	v_fmac_f16_e32 v45, 0xbb9c, v55
	v_add_f16_e32 v97, v36, v40
	v_lshrrev_b32_e32 v2, 16, v3
	v_add_f16_e32 v44, v44, v37
	v_fmac_f16_e32 v56, 0x38b4, v58
	v_add_f16_e32 v59, v59, v75
	v_fmac_f16_e32 v45, 0xb8b4, v58
	v_fmac_f16_e32 v3, -0.5, v97
	v_sub_f16_e32 v75, v31, v36
	v_sub_f16_e32 v97, v37, v40
	v_fmac_f16_e32 v73, 0x34f2, v41
	v_fmac_f16_e32 v9, 0x34f2, v41
	v_add_f16_e32 v41, v44, v40
	v_fmac_f16_e32 v56, 0x34f2, v59
	v_fmac_f16_e32 v45, 0x34f2, v59
	v_fmamk_f16 v44, v58, 0xbb9c, v3
	v_add_f16_e32 v59, v29, v32
	v_fmac_f16_e32 v3, 0x3b9c, v58
	v_sub_f16_e32 v36, v36, v40
	v_add_f16_e32 v40, v75, v97
	v_add_f16_e32 v75, v5, v35
	;; [unrolled: 1-line block ×3, first 2 shown]
	v_fma_f16 v59, -0.5, v59, v2
	v_fmac_f16_e32 v44, 0x38b4, v55
	v_fmac_f16_e32 v3, 0xb8b4, v55
	v_sub_f16_e32 v31, v31, v37
	v_fmac_f16_e32 v2, -0.5, v75
	v_add_f16_e32 v55, v58, v29
	v_fmac_f16_e32 v44, 0x34f2, v40
	v_fmac_f16_e32 v3, 0x34f2, v40
	v_sub_f16_e32 v40, v5, v29
	v_fmamk_f16 v75, v31, 0x3b9c, v2
	v_sub_f16_e32 v5, v29, v5
	v_sub_f16_e32 v29, v32, v35
	v_fmac_f16_e32 v2, 0xbb9c, v31
	v_add_f16_e32 v42, v42, v116
	v_add_f16_e32 v68, v68, v121
	v_fmac_f16_e32 v75, 0xb8b4, v36
	v_add_f16_e32 v5, v5, v29
	v_fmac_f16_e32 v2, 0x38b4, v36
	v_fmamk_f16 v58, v36, 0xbb9c, v59
	v_fmac_f16_e32 v59, 0x3b9c, v36
	v_add_f16_e32 v68, v68, v125
	v_add_f16_e64 v84, v84, v129
	v_fmac_f16_e32 v75, 0x34f2, v5
	v_fmac_f16_e32 v2, 0x34f2, v5
	v_pack_b32_f16 v5, v34, v42
	v_pack_b32_f16 v30, v30, v39
	v_fmac_f16_e32 v58, 0xb8b4, v31
	v_fmac_f16_e32 v59, 0x38b4, v31
	v_pack_b32_f16 v31, v33, v43
	v_pack_b32_f16 v1, v1, v28
	;; [unrolled: 1-line block ×3, first 2 shown]
	v_add_f16_e64 v84, v84, v128
	ds_store_b32 v47, v5
	ds_store_b32 v47, v30 offset:1568
	ds_store_b32 v47, v31 offset:3136
	;; [unrolled: 1-line block ×4, first 2 shown]
	v_pack_b32_f16 v1, v61, v68
	v_pack_b32_f16 v5, v57, v64
	;; [unrolled: 1-line block ×5, first 2 shown]
	v_add_f16_e64 v88, v88, v130
	ds_store_b32 v51, v1
	ds_store_b32 v51, v5 offset:1568
	ds_store_b32 v51, v27 offset:3136
	;; [unrolled: 1-line block ×4, first 2 shown]
	v_pack_b32_f16 v1, v78, v84
	v_pack_b32_f16 v5, v74, v80
	;; [unrolled: 1-line block ×5, first 2 shown]
	ds_store_b32 v50, v1
	ds_store_b32 v50, v5 offset:1568
	ds_store_b32 v50, v22 offset:3136
	;; [unrolled: 1-line block ×4, first 2 shown]
	v_pack_b32_f16 v1, v86, v88
	v_add_f16_e32 v37, v55, v32
	v_sub_f16_e32 v55, v35, v32
	v_pack_b32_f16 v5, v89, v91
	v_pack_b32_f16 v20, v90, v94
	;; [unrolled: 1-line block ×4, first 2 shown]
	ds_store_b32 v49, v1
	ds_store_b32 v49, v5 offset:1568
	ds_store_b32 v49, v20 offset:3136
	;; [unrolled: 1-line block ×4, first 2 shown]
	v_pack_b32_f16 v1, v81, v76
	v_add_f16_e32 v32, v40, v55
	v_pack_b32_f16 v5, v93, v85
	v_pack_b32_f16 v19, v82, v96
	;; [unrolled: 1-line block ×4, first 2 shown]
	v_add_f16_e32 v29, v37, v35
	ds_store_b32 v48, v1
	ds_store_b32 v48, v5 offset:1568
	ds_store_b32 v48, v19 offset:3136
	;; [unrolled: 1-line block ×4, first 2 shown]
	v_pack_b32_f16 v1, v65, v62
	v_fmac_f16_e32 v58, 0x34f2, v32
	v_pack_b32_f16 v5, v72, v70
	v_pack_b32_f16 v18, v66, v73
	;; [unrolled: 1-line block ×3, first 2 shown]
	v_fmac_f16_e32 v59, 0x34f2, v32
	v_pack_b32_f16 v11, v67, v98
	ds_store_b32 v24, v1
	ds_store_b32 v24, v5 offset:1568
	ds_store_b32 v24, v18 offset:3136
	;; [unrolled: 1-line block ×4, first 2 shown]
	v_pack_b32_f16 v1, v41, v29
	v_pack_b32_f16 v5, v56, v58
	;; [unrolled: 1-line block ×5, first 2 shown]
	ds_store_b32 v54, v1
	ds_store_b32 v54, v5 offset:1568
	ds_store_b32 v54, v9 offset:3136
	;; [unrolled: 1-line block ×4, first 2 shown]
	global_wb scope:SCOPE_SE
	s_wait_dscnt 0x0
	s_barrier_signal -1
	s_barrier_wait -1
	global_inv scope:SCOPE_SE
	ds_load_b32 v9, v47
	v_sub_nc_u32_e32 v19, 0, v0
                                        ; implicit-def: $vgpr11
                                        ; implicit-def: $vgpr3
                                        ; implicit-def: $vgpr2
                                        ; implicit-def: $vgpr0_vgpr1
	s_wait_dscnt 0x0
	v_lshrrev_b32_e32 v18, 16, v9
	v_cmpx_ne_u32_e32 0, v4
	s_wait_alu 0xfffe
	s_xor_b32 s2, exec_lo, s2
	s_cbranch_execz .LBB0_23
; %bb.22:
	v_mov_b32_e32 v5, 0
	s_delay_alu instid0(VALU_DEP_1) | instskip(NEXT) | instid1(VALU_DEP_1)
	v_lshlrev_b64_e32 v[0:1], 2, v[4:5]
	v_add_co_u32 v0, s1, s4, v0
	s_wait_alu 0xf1ff
	s_delay_alu instid0(VALU_DEP_2)
	v_add_co_ci_u32_e64 v1, s1, s5, v1, s1
	global_load_b32 v0, v[0:1], off offset:7824
	ds_load_b32 v1, v19 offset:7840
	s_wait_dscnt 0x0
	v_lshrrev_b32_e32 v2, 16, v1
	v_sub_f16_e32 v3, v9, v1
	v_add_f16_e32 v1, v1, v9
	s_delay_alu instid0(VALU_DEP_3) | instskip(SKIP_1) | instid1(VALU_DEP_4)
	v_add_f16_e32 v11, v2, v18
	v_sub_f16_e32 v2, v18, v2
	v_mul_f16_e32 v18, 0.5, v3
	s_delay_alu instid0(VALU_DEP_3) | instskip(NEXT) | instid1(VALU_DEP_3)
	v_mul_f16_e32 v9, 0.5, v11
	v_mul_f16_e32 v2, 0.5, v2
	s_wait_loadcnt 0x0
	v_lshrrev_b32_e32 v3, 16, v0
	s_delay_alu instid0(VALU_DEP_1) | instskip(NEXT) | instid1(VALU_DEP_3)
	v_mul_f16_e32 v11, v3, v18
	v_fma_f16 v20, v9, v3, v2
	s_delay_alu instid0(VALU_DEP_2) | instskip(SKIP_2) | instid1(VALU_DEP_4)
	v_fma_f16 v21, 0.5, v1, v11
	v_fma_f16 v1, v1, 0.5, -v11
	v_fma_f16 v11, v9, v3, -v2
	v_fma_f16 v2, -v0, v18, v20
	s_delay_alu instid0(VALU_DEP_4) | instskip(NEXT) | instid1(VALU_DEP_4)
	v_fmac_f16_e32 v21, v0, v9
	v_fma_f16 v3, -v0, v9, v1
	s_delay_alu instid0(VALU_DEP_4)
	v_fma_f16 v11, -v0, v18, v11
	v_dual_mov_b32 v0, v4 :: v_dual_mov_b32 v1, v5
	ds_store_b16 v47, v21
                                        ; implicit-def: $vgpr18
                                        ; implicit-def: $vgpr9
.LBB0_23:
	s_wait_alu 0xfffe
	s_and_not1_saveexec_b32 s1, s2
	s_cbranch_execz .LBB0_25
; %bb.24:
	v_mov_b32_e32 v2, 0
	v_add_f16_e32 v5, v18, v9
	v_sub_f16_e32 v3, v9, v18
	v_mov_b32_e32 v11, 0
	ds_load_u16 v0, v2 offset:3922
	s_wait_dscnt 0x0
	v_xor_b32_e32 v9, 0x8000, v0
	v_mov_b32_e32 v0, 0
	v_mov_b32_e32 v1, 0
	ds_store_b16 v47, v5
	ds_store_b16 v2, v9 offset:3922
.LBB0_25:
	s_wait_alu 0xfffe
	s_or_b32 exec_lo, exec_lo, s1
	v_mov_b32_e32 v9, 0
	ds_store_b16 v47, v2 offset:2
	v_lshlrev_b64_e32 v[0:1], 2, v[0:1]
	s_add_nc_u64 s[2:3], s[4:5], 0x1e90
	v_lshlrev_b64_e32 v[20:21], 2, v[8:9]
	v_mov_b32_e32 v18, v9
	v_perm_b32 v8, v11, v3, 0x5040100
	v_mov_b32_e32 v11, v9
	s_delay_alu instid0(VALU_DEP_4)
	v_add_co_u32 v20, s1, s4, v20
	s_wait_alu 0xf1ff
	v_add_co_ci_u32_e64 v21, s1, s5, v21, s1
	v_lshlrev_b64_e32 v[17:18], 2, v[17:18]
	ds_store_b32 v19, v8 offset:7840
	global_load_b32 v5, v[20:21], off offset:7824
	v_add_co_u32 v17, s1, s4, v17
	s_wait_alu 0xf1ff
	v_add_co_ci_u32_e64 v18, s1, s5, v18, s1
	global_load_b32 v18, v[17:18], off offset:7824
	v_mov_b32_e32 v17, v9
	s_delay_alu instid0(VALU_DEP_1) | instskip(NEXT) | instid1(VALU_DEP_1)
	v_lshlrev_b64_e32 v[16:17], 2, v[16:17]
	v_add_co_u32 v16, s1, s4, v16
	s_wait_alu 0xf1ff
	s_delay_alu instid0(VALU_DEP_2) | instskip(SKIP_2) | instid1(VALU_DEP_1)
	v_add_co_ci_u32_e64 v17, s1, s5, v17, s1
	global_load_b32 v17, v[16:17], off offset:7824
	v_mov_b32_e32 v16, v9
	v_lshlrev_b64_e32 v[15:16], 2, v[15:16]
	s_delay_alu instid0(VALU_DEP_1) | instskip(SKIP_1) | instid1(VALU_DEP_2)
	v_add_co_u32 v15, s1, s4, v15
	s_wait_alu 0xf1ff
	v_add_co_ci_u32_e64 v16, s1, s5, v16, s1
	global_load_b32 v16, v[15:16], off offset:7824
	v_mov_b32_e32 v15, v9
	s_delay_alu instid0(VALU_DEP_1) | instskip(NEXT) | instid1(VALU_DEP_1)
	v_lshlrev_b64_e32 v[14:15], 2, v[14:15]
	v_add_co_u32 v14, s1, s4, v14
	s_wait_alu 0xf1ff
	s_delay_alu instid0(VALU_DEP_2) | instskip(SKIP_2) | instid1(VALU_DEP_1)
	v_add_co_ci_u32_e64 v15, s1, s5, v15, s1
	global_load_b32 v15, v[14:15], off offset:7824
	v_mov_b32_e32 v14, v9
	v_lshlrev_b64_e32 v[2:3], 2, v[13:14]
	ds_load_b32 v14, v51
	ds_load_b32 v20, v19 offset:7616
	v_mov_b32_e32 v13, v9
	v_add_co_u32 v2, s1, s4, v2
	s_wait_alu 0xf1ff
	v_add_co_ci_u32_e64 v3, s1, s5, v3, s1
	s_delay_alu instid0(VALU_DEP_3) | instskip(SKIP_2) | instid1(VALU_DEP_1)
	v_lshlrev_b64_e32 v[8:9], 2, v[12:13]
	global_load_b32 v21, v[2:3], off offset:7824
	v_lshlrev_b64_e32 v[2:3], 2, v[10:11]
	v_add_co_u32 v2, s1, s4, v2
	s_wait_dscnt 0x0
	v_pk_add_f16 v10, v14, v20 neg_lo:[0,1] neg_hi:[0,1]
	v_pk_add_f16 v11, v14, v20
	s_wait_alu 0xf1ff
	v_add_co_ci_u32_e64 v3, s1, s5, v3, s1
	v_add_co_u32 v8, s1, s4, v8
	s_delay_alu instid0(VALU_DEP_3) | instskip(SKIP_3) | instid1(VALU_DEP_3)
	v_bfi_b32 v12, 0xffff, v10, v11
	s_wait_alu 0xf1ff
	v_add_co_ci_u32_e64 v9, s1, s5, v9, s1
	v_bfi_b32 v10, 0xffff, v11, v10
	v_pk_mul_f16 v11, v12, 0.5 op_sel_hi:[1,0]
	s_clause 0x1
	global_load_b32 v12, v[2:3], off offset:7824
	global_load_b32 v8, v[8:9], off offset:7824
	v_pk_mul_f16 v10, v10, 0.5 op_sel_hi:[1,0]
	s_wait_loadcnt 0x7
	s_delay_alu instid0(VALU_DEP_1) | instskip(SKIP_3) | instid1(VALU_DEP_3)
	v_pk_fma_f16 v2, v5, v11, v10 op_sel:[1,0,0]
	v_pk_mul_f16 v3, v5, v11 op_sel_hi:[0,1]
	v_pk_fma_f16 v9, v5, v11, v10 op_sel:[1,0,0] neg_lo:[1,0,0] neg_hi:[1,0,0]
	v_pk_fma_f16 v5, v5, v11, v10 op_sel:[1,0,0] neg_lo:[0,0,1] neg_hi:[0,0,1]
	v_pk_add_f16 v10, v2, v3 op_sel:[0,1] op_sel_hi:[1,0]
	v_pk_add_f16 v2, v2, v3 op_sel:[0,1] op_sel_hi:[1,0] neg_lo:[0,1] neg_hi:[0,1]
	s_delay_alu instid0(VALU_DEP_4) | instskip(NEXT) | instid1(VALU_DEP_4)
	v_pk_add_f16 v9, v9, v3 op_sel:[0,1] op_sel_hi:[1,0] neg_lo:[0,1] neg_hi:[0,1]
	v_pk_add_f16 v3, v5, v3 op_sel:[0,1] op_sel_hi:[1,0] neg_lo:[0,1] neg_hi:[0,1]
	s_delay_alu instid0(VALU_DEP_3) | instskip(NEXT) | instid1(VALU_DEP_2)
	v_bfi_b32 v2, 0xffff, v10, v2
	v_bfi_b32 v3, 0xffff, v9, v3
	ds_store_b32 v51, v2
	ds_store_b32 v19, v3 offset:7616
	ds_load_b32 v2, v50
	ds_load_b32 v3, v19 offset:7392
	s_wait_dscnt 0x0
	v_pk_add_f16 v5, v2, v3 neg_lo:[0,1] neg_hi:[0,1]
	v_pk_add_f16 v2, v2, v3
	s_delay_alu instid0(VALU_DEP_1) | instskip(SKIP_1) | instid1(VALU_DEP_2)
	v_bfi_b32 v3, 0xffff, v5, v2
	v_bfi_b32 v2, 0xffff, v2, v5
	v_pk_mul_f16 v3, v3, 0.5 op_sel_hi:[1,0]
	s_delay_alu instid0(VALU_DEP_2) | instskip(SKIP_1) | instid1(VALU_DEP_2)
	v_pk_mul_f16 v2, v2, 0.5 op_sel_hi:[1,0]
	s_wait_loadcnt 0x6
	v_pk_mul_f16 v9, v18, v3 op_sel_hi:[0,1]
	s_delay_alu instid0(VALU_DEP_2) | instskip(SKIP_2) | instid1(VALU_DEP_3)
	v_pk_fma_f16 v5, v18, v3, v2 op_sel:[1,0,0]
	v_pk_fma_f16 v10, v18, v3, v2 op_sel:[1,0,0] neg_lo:[1,0,0] neg_hi:[1,0,0]
	v_pk_fma_f16 v2, v18, v3, v2 op_sel:[1,0,0] neg_lo:[0,0,1] neg_hi:[0,0,1]
	v_pk_add_f16 v3, v5, v9 op_sel:[0,1] op_sel_hi:[1,0]
	v_pk_add_f16 v5, v5, v9 op_sel:[0,1] op_sel_hi:[1,0] neg_lo:[0,1] neg_hi:[0,1]
	s_delay_alu instid0(VALU_DEP_4) | instskip(NEXT) | instid1(VALU_DEP_4)
	v_pk_add_f16 v10, v10, v9 op_sel:[0,1] op_sel_hi:[1,0] neg_lo:[0,1] neg_hi:[0,1]
	v_pk_add_f16 v2, v2, v9 op_sel:[0,1] op_sel_hi:[1,0] neg_lo:[0,1] neg_hi:[0,1]
	s_delay_alu instid0(VALU_DEP_3) | instskip(NEXT) | instid1(VALU_DEP_2)
	v_bfi_b32 v3, 0xffff, v3, v5
	v_bfi_b32 v2, 0xffff, v10, v2
	ds_store_b32 v50, v3
	ds_store_b32 v19, v2 offset:7392
	ds_load_b32 v2, v49
	ds_load_b32 v3, v19 offset:7168
	s_wait_dscnt 0x0
	v_pk_add_f16 v5, v2, v3 neg_lo:[0,1] neg_hi:[0,1]
	v_pk_add_f16 v2, v2, v3
	s_delay_alu instid0(VALU_DEP_1) | instskip(SKIP_1) | instid1(VALU_DEP_2)
	v_bfi_b32 v3, 0xffff, v5, v2
	v_bfi_b32 v2, 0xffff, v2, v5
	v_pk_mul_f16 v3, v3, 0.5 op_sel_hi:[1,0]
	s_delay_alu instid0(VALU_DEP_2) | instskip(SKIP_1) | instid1(VALU_DEP_2)
	v_pk_mul_f16 v2, v2, 0.5 op_sel_hi:[1,0]
	s_wait_loadcnt 0x5
	v_pk_mul_f16 v9, v17, v3 op_sel_hi:[0,1]
	s_delay_alu instid0(VALU_DEP_2) | instskip(SKIP_2) | instid1(VALU_DEP_3)
	v_pk_fma_f16 v5, v17, v3, v2 op_sel:[1,0,0]
	v_pk_fma_f16 v10, v17, v3, v2 op_sel:[1,0,0] neg_lo:[1,0,0] neg_hi:[1,0,0]
	v_pk_fma_f16 v2, v17, v3, v2 op_sel:[1,0,0] neg_lo:[0,0,1] neg_hi:[0,0,1]
	v_pk_add_f16 v3, v5, v9 op_sel:[0,1] op_sel_hi:[1,0]
	v_pk_add_f16 v5, v5, v9 op_sel:[0,1] op_sel_hi:[1,0] neg_lo:[0,1] neg_hi:[0,1]
	s_delay_alu instid0(VALU_DEP_4) | instskip(NEXT) | instid1(VALU_DEP_4)
	v_pk_add_f16 v10, v10, v9 op_sel:[0,1] op_sel_hi:[1,0] neg_lo:[0,1] neg_hi:[0,1]
	v_pk_add_f16 v2, v2, v9 op_sel:[0,1] op_sel_hi:[1,0] neg_lo:[0,1] neg_hi:[0,1]
	s_delay_alu instid0(VALU_DEP_3) | instskip(NEXT) | instid1(VALU_DEP_2)
	v_bfi_b32 v3, 0xffff, v3, v5
	v_bfi_b32 v2, 0xffff, v10, v2
	ds_store_b32 v49, v3
	ds_store_b32 v19, v2 offset:7168
	s_wait_alu 0xfffe
	v_add_co_u32 v2, s1, s2, v0
	s_wait_alu 0xf1ff
	v_add_co_ci_u32_e64 v3, s1, s3, v1, s1
	ds_load_b32 v5, v48
	ds_load_b32 v9, v19 offset:6944
	global_load_b32 v10, v[2:3], off offset:2016
	s_wait_dscnt 0x0
	v_pk_add_f16 v11, v5, v9 neg_lo:[0,1] neg_hi:[0,1]
	v_pk_add_f16 v5, v5, v9
	s_delay_alu instid0(VALU_DEP_1) | instskip(SKIP_1) | instid1(VALU_DEP_2)
	v_bfi_b32 v9, 0xffff, v11, v5
	v_bfi_b32 v5, 0xffff, v5, v11
	v_pk_mul_f16 v9, v9, 0.5 op_sel_hi:[1,0]
	s_delay_alu instid0(VALU_DEP_2) | instskip(SKIP_1) | instid1(VALU_DEP_2)
	v_pk_mul_f16 v5, v5, 0.5 op_sel_hi:[1,0]
	s_wait_loadcnt 0x5
	v_pk_mul_f16 v13, v16, v9 op_sel_hi:[0,1]
	s_delay_alu instid0(VALU_DEP_2) | instskip(SKIP_2) | instid1(VALU_DEP_3)
	v_pk_fma_f16 v11, v16, v9, v5 op_sel:[1,0,0]
	v_pk_fma_f16 v14, v16, v9, v5 op_sel:[1,0,0] neg_lo:[1,0,0] neg_hi:[1,0,0]
	v_pk_fma_f16 v5, v16, v9, v5 op_sel:[1,0,0] neg_lo:[0,0,1] neg_hi:[0,0,1]
	v_pk_add_f16 v9, v11, v13 op_sel:[0,1] op_sel_hi:[1,0]
	v_pk_add_f16 v11, v11, v13 op_sel:[0,1] op_sel_hi:[1,0] neg_lo:[0,1] neg_hi:[0,1]
	s_delay_alu instid0(VALU_DEP_4) | instskip(NEXT) | instid1(VALU_DEP_4)
	v_pk_add_f16 v14, v14, v13 op_sel:[0,1] op_sel_hi:[1,0] neg_lo:[0,1] neg_hi:[0,1]
	v_pk_add_f16 v5, v5, v13 op_sel:[0,1] op_sel_hi:[1,0] neg_lo:[0,1] neg_hi:[0,1]
	s_delay_alu instid0(VALU_DEP_3) | instskip(NEXT) | instid1(VALU_DEP_2)
	v_bfi_b32 v9, 0xffff, v9, v11
	v_bfi_b32 v5, 0xffff, v14, v5
	ds_store_b32 v48, v9
	ds_store_b32 v19, v5 offset:6944
	ds_load_b32 v5, v24
	ds_load_b32 v9, v19 offset:6720
	global_load_b32 v11, v[2:3], off offset:2240
	s_wait_dscnt 0x0
	v_pk_add_f16 v13, v5, v9 neg_lo:[0,1] neg_hi:[0,1]
	v_pk_add_f16 v5, v5, v9
	s_delay_alu instid0(VALU_DEP_1) | instskip(SKIP_1) | instid1(VALU_DEP_2)
	v_bfi_b32 v9, 0xffff, v13, v5
	v_bfi_b32 v5, 0xffff, v5, v13
	v_pk_mul_f16 v9, v9, 0.5 op_sel_hi:[1,0]
	s_delay_alu instid0(VALU_DEP_2) | instskip(SKIP_1) | instid1(VALU_DEP_2)
	v_pk_mul_f16 v5, v5, 0.5 op_sel_hi:[1,0]
	s_wait_loadcnt 0x5
	v_pk_mul_f16 v14, v15, v9 op_sel_hi:[0,1]
	s_delay_alu instid0(VALU_DEP_2) | instskip(SKIP_2) | instid1(VALU_DEP_3)
	v_pk_fma_f16 v13, v15, v9, v5 op_sel:[1,0,0]
	v_pk_fma_f16 v16, v15, v9, v5 op_sel:[1,0,0] neg_lo:[1,0,0] neg_hi:[1,0,0]
	v_pk_fma_f16 v5, v15, v9, v5 op_sel:[1,0,0] neg_lo:[0,0,1] neg_hi:[0,0,1]
	v_pk_add_f16 v9, v13, v14 op_sel:[0,1] op_sel_hi:[1,0]
	v_pk_add_f16 v13, v13, v14 op_sel:[0,1] op_sel_hi:[1,0] neg_lo:[0,1] neg_hi:[0,1]
	s_delay_alu instid0(VALU_DEP_4) | instskip(NEXT) | instid1(VALU_DEP_4)
	v_pk_add_f16 v15, v16, v14 op_sel:[0,1] op_sel_hi:[1,0] neg_lo:[0,1] neg_hi:[0,1]
	v_pk_add_f16 v5, v5, v14 op_sel:[0,1] op_sel_hi:[1,0] neg_lo:[0,1] neg_hi:[0,1]
	s_delay_alu instid0(VALU_DEP_3) | instskip(NEXT) | instid1(VALU_DEP_2)
	v_bfi_b32 v9, 0xffff, v9, v13
	v_bfi_b32 v5, 0xffff, v15, v5
	ds_store_b32 v24, v9
	ds_store_b32 v19, v5 offset:6720
	;; [unrolled: 28-line block ×5, first 2 shown]
	ds_load_b32 v5, v47 offset:2016
	ds_load_b32 v8, v19 offset:5824
	global_load_b32 v9, v[2:3], off offset:3136
	s_wait_dscnt 0x0
	v_pk_add_f16 v15, v5, v8 neg_lo:[0,1] neg_hi:[0,1]
	v_pk_add_f16 v5, v5, v8
	s_delay_alu instid0(VALU_DEP_1)
	v_bfi_b32 v8, 0xffff, v15, v5
	v_bfi_b32 v5, 0xffff, v5, v15
	s_clause 0x1
	global_load_b32 v15, v[2:3], off offset:3360
	global_load_b32 v16, v[2:3], off offset:3584
	v_pk_mul_f16 v8, v8, 0.5 op_sel_hi:[1,0]
	v_pk_mul_f16 v5, v5, 0.5 op_sel_hi:[1,0]
	s_wait_loadcnt 0x7
	s_delay_alu instid0(VALU_DEP_1) | instskip(SKIP_3) | instid1(VALU_DEP_3)
	v_pk_fma_f16 v17, v10, v8, v5 op_sel:[1,0,0]
	v_pk_mul_f16 v18, v10, v8 op_sel_hi:[0,1]
	v_pk_fma_f16 v20, v10, v8, v5 op_sel:[1,0,0] neg_lo:[1,0,0] neg_hi:[1,0,0]
	v_pk_fma_f16 v5, v10, v8, v5 op_sel:[1,0,0] neg_lo:[0,0,1] neg_hi:[0,0,1]
	v_pk_add_f16 v8, v17, v18 op_sel:[0,1] op_sel_hi:[1,0]
	v_pk_add_f16 v10, v17, v18 op_sel:[0,1] op_sel_hi:[1,0] neg_lo:[0,1] neg_hi:[0,1]
	s_delay_alu instid0(VALU_DEP_4) | instskip(NEXT) | instid1(VALU_DEP_4)
	v_pk_add_f16 v17, v20, v18 op_sel:[0,1] op_sel_hi:[1,0] neg_lo:[0,1] neg_hi:[0,1]
	v_pk_add_f16 v5, v5, v18 op_sel:[0,1] op_sel_hi:[1,0] neg_lo:[0,1] neg_hi:[0,1]
	s_delay_alu instid0(VALU_DEP_3) | instskip(NEXT) | instid1(VALU_DEP_2)
	v_bfi_b32 v8, 0xffff, v8, v10
	v_bfi_b32 v5, 0xffff, v17, v5
	ds_store_b32 v47, v8 offset:2016
	ds_store_b32 v19, v5 offset:5824
	ds_load_b32 v5, v47 offset:2240
	ds_load_b32 v8, v19 offset:5600
	s_wait_dscnt 0x0
	v_pk_add_f16 v10, v5, v8 neg_lo:[0,1] neg_hi:[0,1]
	v_pk_add_f16 v5, v5, v8
	s_delay_alu instid0(VALU_DEP_1) | instskip(SKIP_1) | instid1(VALU_DEP_2)
	v_bfi_b32 v8, 0xffff, v10, v5
	v_bfi_b32 v5, 0xffff, v5, v10
	v_pk_mul_f16 v8, v8, 0.5 op_sel_hi:[1,0]
	s_delay_alu instid0(VALU_DEP_2) | instskip(SKIP_1) | instid1(VALU_DEP_2)
	v_pk_mul_f16 v5, v5, 0.5 op_sel_hi:[1,0]
	s_wait_loadcnt 0x6
	v_pk_mul_f16 v17, v11, v8 op_sel_hi:[0,1]
	s_delay_alu instid0(VALU_DEP_2) | instskip(SKIP_2) | instid1(VALU_DEP_3)
	v_pk_fma_f16 v10, v11, v8, v5 op_sel:[1,0,0]
	v_pk_fma_f16 v18, v11, v8, v5 op_sel:[1,0,0] neg_lo:[1,0,0] neg_hi:[1,0,0]
	v_pk_fma_f16 v5, v11, v8, v5 op_sel:[1,0,0] neg_lo:[0,0,1] neg_hi:[0,0,1]
	v_pk_add_f16 v8, v10, v17 op_sel:[0,1] op_sel_hi:[1,0]
	v_pk_add_f16 v10, v10, v17 op_sel:[0,1] op_sel_hi:[1,0] neg_lo:[0,1] neg_hi:[0,1]
	s_delay_alu instid0(VALU_DEP_4) | instskip(NEXT) | instid1(VALU_DEP_4)
	v_pk_add_f16 v11, v18, v17 op_sel:[0,1] op_sel_hi:[1,0] neg_lo:[0,1] neg_hi:[0,1]
	v_pk_add_f16 v5, v5, v17 op_sel:[0,1] op_sel_hi:[1,0] neg_lo:[0,1] neg_hi:[0,1]
	s_delay_alu instid0(VALU_DEP_3) | instskip(NEXT) | instid1(VALU_DEP_2)
	v_bfi_b32 v8, 0xffff, v8, v10
	v_bfi_b32 v5, 0xffff, v11, v5
	ds_store_b32 v47, v8 offset:2240
	ds_store_b32 v19, v5 offset:5600
	ds_load_b32 v5, v47 offset:2464
	ds_load_b32 v8, v19 offset:5376
	s_wait_dscnt 0x0
	v_pk_add_f16 v10, v5, v8 neg_lo:[0,1] neg_hi:[0,1]
	v_pk_add_f16 v5, v5, v8
	s_delay_alu instid0(VALU_DEP_1) | instskip(SKIP_1) | instid1(VALU_DEP_2)
	v_bfi_b32 v8, 0xffff, v10, v5
	v_bfi_b32 v5, 0xffff, v5, v10
	v_pk_mul_f16 v8, v8, 0.5 op_sel_hi:[1,0]
	s_delay_alu instid0(VALU_DEP_2) | instskip(SKIP_1) | instid1(VALU_DEP_2)
	v_pk_mul_f16 v5, v5, 0.5 op_sel_hi:[1,0]
	s_wait_loadcnt 0x5
	v_pk_mul_f16 v11, v13, v8 op_sel_hi:[0,1]
	s_delay_alu instid0(VALU_DEP_2) | instskip(SKIP_2) | instid1(VALU_DEP_3)
	v_pk_fma_f16 v10, v13, v8, v5 op_sel:[1,0,0]
	;; [unrolled: 27-line block ×7, first 2 shown]
	v_pk_fma_f16 v11, v16, v8, v5 op_sel:[1,0,0] neg_lo:[1,0,0] neg_hi:[1,0,0]
	v_pk_fma_f16 v5, v16, v8, v5 op_sel:[1,0,0] neg_lo:[0,0,1] neg_hi:[0,0,1]
	v_pk_add_f16 v8, v9, v10 op_sel:[0,1] op_sel_hi:[1,0]
	v_pk_add_f16 v9, v9, v10 op_sel:[0,1] op_sel_hi:[1,0] neg_lo:[0,1] neg_hi:[0,1]
	s_delay_alu instid0(VALU_DEP_4) | instskip(NEXT) | instid1(VALU_DEP_4)
	v_pk_add_f16 v11, v11, v10 op_sel:[0,1] op_sel_hi:[1,0] neg_lo:[0,1] neg_hi:[0,1]
	v_pk_add_f16 v5, v5, v10 op_sel:[0,1] op_sel_hi:[1,0] neg_lo:[0,1] neg_hi:[0,1]
	s_delay_alu instid0(VALU_DEP_3) | instskip(NEXT) | instid1(VALU_DEP_2)
	v_bfi_b32 v8, 0xffff, v8, v9
	v_bfi_b32 v5, 0xffff, v11, v5
	ds_store_b32 v47, v8 offset:3584
	ds_store_b32 v19, v5 offset:4256
	s_and_saveexec_b32 s1, s0
	s_cbranch_execz .LBB0_27
; %bb.26:
	global_load_b32 v2, v[2:3], off offset:3808
	ds_load_b32 v3, v47 offset:3808
	ds_load_b32 v5, v19 offset:4032
	s_wait_dscnt 0x0
	v_pk_add_f16 v8, v3, v5 neg_lo:[0,1] neg_hi:[0,1]
	v_pk_add_f16 v3, v3, v5
	s_delay_alu instid0(VALU_DEP_1) | instskip(SKIP_1) | instid1(VALU_DEP_2)
	v_bfi_b32 v5, 0xffff, v8, v3
	v_bfi_b32 v3, 0xffff, v3, v8
	v_pk_mul_f16 v5, v5, 0.5 op_sel_hi:[1,0]
	s_delay_alu instid0(VALU_DEP_2) | instskip(SKIP_1) | instid1(VALU_DEP_1)
	v_pk_mul_f16 v3, v3, 0.5 op_sel_hi:[1,0]
	s_wait_loadcnt 0x0
	v_pk_fma_f16 v8, v2, v5, v3 op_sel:[1,0,0]
	v_pk_mul_f16 v9, v2, v5 op_sel_hi:[0,1]
	v_pk_fma_f16 v10, v2, v5, v3 op_sel:[1,0,0] neg_lo:[1,0,0] neg_hi:[1,0,0]
	v_pk_fma_f16 v2, v2, v5, v3 op_sel:[1,0,0] neg_lo:[0,0,1] neg_hi:[0,0,1]
	s_delay_alu instid0(VALU_DEP_3) | instskip(SKIP_1) | instid1(VALU_DEP_4)
	v_pk_add_f16 v3, v8, v9 op_sel:[0,1] op_sel_hi:[1,0]
	v_pk_add_f16 v5, v8, v9 op_sel:[0,1] op_sel_hi:[1,0] neg_lo:[0,1] neg_hi:[0,1]
	v_pk_add_f16 v8, v10, v9 op_sel:[0,1] op_sel_hi:[1,0] neg_lo:[0,1] neg_hi:[0,1]
	s_delay_alu instid0(VALU_DEP_4) | instskip(NEXT) | instid1(VALU_DEP_3)
	v_pk_add_f16 v2, v2, v9 op_sel:[0,1] op_sel_hi:[1,0] neg_lo:[0,1] neg_hi:[0,1]
	v_bfi_b32 v3, 0xffff, v3, v5
	s_delay_alu instid0(VALU_DEP_2)
	v_bfi_b32 v2, 0xffff, v8, v2
	ds_store_b32 v47, v3 offset:3808
	ds_store_b32 v19, v2 offset:4032
.LBB0_27:
	s_wait_alu 0xfffe
	s_or_b32 exec_lo, exec_lo, s1
	global_wb scope:SCOPE_SE
	s_wait_dscnt 0x0
	s_barrier_signal -1
	s_barrier_wait -1
	global_inv scope:SCOPE_SE
	s_and_saveexec_b32 s0, vcc_lo
	s_cbranch_execz .LBB0_30
; %bb.28:
	v_add_nc_u32_e32 v2, 0x200, v47
	v_add_nc_u32_e32 v5, 0x400, v47
	ds_load_2addr_b32 v[8:9], v47 offset1:56
	v_add_nc_u32_e32 v18, 0xc00, v47
	ds_load_2addr_b32 v[10:11], v47 offset0:112 offset1:168
	ds_load_2addr_b32 v[12:13], v2 offset0:96 offset1:152
	;; [unrolled: 1-line block ×3, first 2 shown]
	v_add_co_u32 v2, vcc_lo, s8, v6
	s_wait_alu 0xfffd
	v_add_co_ci_u32_e32 v3, vcc_lo, s9, v7, vcc_lo
	v_add_nc_u32_e32 v7, 0x800, v47
	s_delay_alu instid0(VALU_DEP_3) | instskip(SKIP_1) | instid1(VALU_DEP_3)
	v_add_co_u32 v0, vcc_lo, v2, v0
	s_wait_alu 0xfffd
	v_add_co_ci_u32_e32 v1, vcc_lo, v3, v1, vcc_lo
	ds_load_2addr_b32 v[5:6], v5 offset0:192 offset1:248
	ds_load_2addr_b32 v[16:17], v7 offset0:48 offset1:104
	v_add_nc_u32_e32 v20, 0x1200, v47
	v_add_nc_u32_e32 v24, 0x1400, v47
	;; [unrolled: 1-line block ×3, first 2 shown]
	v_cmp_eq_u32_e32 vcc_lo, 55, v4
	s_wait_dscnt 0x5
	s_clause 0x1
	global_store_b32 v[0:1], v8, off
	global_store_b32 v[0:1], v9, off offset:224
	s_wait_dscnt 0x4
	s_clause 0x1
	global_store_b32 v[0:1], v10, off offset:448
	global_store_b32 v[0:1], v11, off offset:672
	s_wait_dscnt 0x3
	s_clause 0x1
	global_store_b32 v[0:1], v12, off offset:896
	;; [unrolled: 4-line block ×3, first 2 shown]
	global_store_b32 v[0:1], v15, off offset:1568
	v_add_nc_u32_e32 v15, 0x1000, v47
	ds_load_2addr_b32 v[7:8], v7 offset0:160 offset1:216
	v_add_nc_u32_e32 v13, 0xe00, v47
	ds_load_2addr_b32 v[9:10], v18 offset0:16 offset1:72
	ds_load_2addr_b32 v[11:12], v18 offset0:128 offset1:184
	;; [unrolled: 1-line block ×3, first 2 shown]
	v_add_nc_u32_e32 v15, 0x1800, v47
	ds_load_2addr_b32 v[13:14], v13 offset0:112 offset1:168
	ds_load_2addr_b32 v[20:21], v20 offset0:80 offset1:136
	;; [unrolled: 1-line block ×6, first 2 shown]
	ds_load_2addr_b32 v[30:31], v30 offset1:56
	s_wait_dscnt 0xc
	s_clause 0x1
	global_store_b32 v[0:1], v5, off offset:1792
	global_store_b32 v[0:1], v6, off offset:2016
	s_wait_dscnt 0xb
	s_clause 0x1
	global_store_b32 v[0:1], v16, off offset:2240
	global_store_b32 v[0:1], v17, off offset:2464
	;; [unrolled: 4-line block ×4, first 2 shown]
	ds_load_b32 v5, v47 offset:7616
	s_wait_dscnt 0x9
	s_clause 0x1
	global_store_b32 v[0:1], v11, off offset:3584
	global_store_b32 v[0:1], v12, off offset:3808
	s_wait_dscnt 0x7
	s_clause 0x3
	global_store_b32 v[0:1], v13, off offset:4032
	global_store_b32 v[0:1], v14, off offset:4256
	;; [unrolled: 1-line block ×4, first 2 shown]
	s_wait_dscnt 0x6
	s_clause 0x1
	global_store_b32 v[0:1], v20, off offset:4928
	global_store_b32 v[0:1], v21, off offset:5152
	s_wait_dscnt 0x5
	s_clause 0x1
	global_store_b32 v[0:1], v22, off offset:5376
	global_store_b32 v[0:1], v23, off offset:5600
	;; [unrolled: 4-line block ×6, first 2 shown]
	s_wait_dscnt 0x0
	global_store_b32 v[0:1], v5, off offset:7616
	s_and_b32 exec_lo, exec_lo, vcc_lo
	s_cbranch_execz .LBB0_30
; %bb.29:
	v_mov_b32_e32 v0, 0
	ds_load_b32 v0, v0 offset:7840
	s_wait_dscnt 0x0
	global_store_b32 v[2:3], v0, off offset:7840
.LBB0_30:
	s_nop 0
	s_sendmsg sendmsg(MSG_DEALLOC_VGPRS)
	s_endpgm
	.section	.rodata,"a",@progbits
	.p2align	6, 0x0
	.amdhsa_kernel fft_rtc_fwd_len1960_factors_4_7_2_7_5_wgs_56_tpt_56_halfLds_half_ip_CI_unitstride_sbrr_R2C_dirReg
		.amdhsa_group_segment_fixed_size 0
		.amdhsa_private_segment_fixed_size 0
		.amdhsa_kernarg_size 88
		.amdhsa_user_sgpr_count 2
		.amdhsa_user_sgpr_dispatch_ptr 0
		.amdhsa_user_sgpr_queue_ptr 0
		.amdhsa_user_sgpr_kernarg_segment_ptr 1
		.amdhsa_user_sgpr_dispatch_id 0
		.amdhsa_user_sgpr_private_segment_size 0
		.amdhsa_wavefront_size32 1
		.amdhsa_uses_dynamic_stack 0
		.amdhsa_enable_private_segment 0
		.amdhsa_system_sgpr_workgroup_id_x 1
		.amdhsa_system_sgpr_workgroup_id_y 0
		.amdhsa_system_sgpr_workgroup_id_z 0
		.amdhsa_system_sgpr_workgroup_info 0
		.amdhsa_system_vgpr_workitem_id 0
		.amdhsa_next_free_vgpr 131
		.amdhsa_next_free_sgpr 32
		.amdhsa_reserve_vcc 1
		.amdhsa_float_round_mode_32 0
		.amdhsa_float_round_mode_16_64 0
		.amdhsa_float_denorm_mode_32 3
		.amdhsa_float_denorm_mode_16_64 3
		.amdhsa_fp16_overflow 0
		.amdhsa_workgroup_processor_mode 1
		.amdhsa_memory_ordered 1
		.amdhsa_forward_progress 0
		.amdhsa_round_robin_scheduling 0
		.amdhsa_exception_fp_ieee_invalid_op 0
		.amdhsa_exception_fp_denorm_src 0
		.amdhsa_exception_fp_ieee_div_zero 0
		.amdhsa_exception_fp_ieee_overflow 0
		.amdhsa_exception_fp_ieee_underflow 0
		.amdhsa_exception_fp_ieee_inexact 0
		.amdhsa_exception_int_div_zero 0
	.end_amdhsa_kernel
	.text
.Lfunc_end0:
	.size	fft_rtc_fwd_len1960_factors_4_7_2_7_5_wgs_56_tpt_56_halfLds_half_ip_CI_unitstride_sbrr_R2C_dirReg, .Lfunc_end0-fft_rtc_fwd_len1960_factors_4_7_2_7_5_wgs_56_tpt_56_halfLds_half_ip_CI_unitstride_sbrr_R2C_dirReg
                                        ; -- End function
	.section	.AMDGPU.csdata,"",@progbits
; Kernel info:
; codeLenInByte = 25072
; NumSgprs: 34
; NumVgprs: 131
; ScratchSize: 0
; MemoryBound: 0
; FloatMode: 240
; IeeeMode: 1
; LDSByteSize: 0 bytes/workgroup (compile time only)
; SGPRBlocks: 4
; VGPRBlocks: 16
; NumSGPRsForWavesPerEU: 34
; NumVGPRsForWavesPerEU: 131
; Occupancy: 10
; WaveLimiterHint : 1
; COMPUTE_PGM_RSRC2:SCRATCH_EN: 0
; COMPUTE_PGM_RSRC2:USER_SGPR: 2
; COMPUTE_PGM_RSRC2:TRAP_HANDLER: 0
; COMPUTE_PGM_RSRC2:TGID_X_EN: 1
; COMPUTE_PGM_RSRC2:TGID_Y_EN: 0
; COMPUTE_PGM_RSRC2:TGID_Z_EN: 0
; COMPUTE_PGM_RSRC2:TIDIG_COMP_CNT: 0
	.text
	.p2alignl 7, 3214868480
	.fill 96, 4, 3214868480
	.type	__hip_cuid_97c459546611a2c4,@object ; @__hip_cuid_97c459546611a2c4
	.section	.bss,"aw",@nobits
	.globl	__hip_cuid_97c459546611a2c4
__hip_cuid_97c459546611a2c4:
	.byte	0                               ; 0x0
	.size	__hip_cuid_97c459546611a2c4, 1

	.ident	"AMD clang version 19.0.0git (https://github.com/RadeonOpenCompute/llvm-project roc-6.4.0 25133 c7fe45cf4b819c5991fe208aaa96edf142730f1d)"
	.section	".note.GNU-stack","",@progbits
	.addrsig
	.addrsig_sym __hip_cuid_97c459546611a2c4
	.amdgpu_metadata
---
amdhsa.kernels:
  - .args:
      - .actual_access:  read_only
        .address_space:  global
        .offset:         0
        .size:           8
        .value_kind:     global_buffer
      - .offset:         8
        .size:           8
        .value_kind:     by_value
      - .actual_access:  read_only
        .address_space:  global
        .offset:         16
        .size:           8
        .value_kind:     global_buffer
      - .actual_access:  read_only
        .address_space:  global
        .offset:         24
        .size:           8
        .value_kind:     global_buffer
      - .offset:         32
        .size:           8
        .value_kind:     by_value
      - .actual_access:  read_only
        .address_space:  global
        .offset:         40
        .size:           8
        .value_kind:     global_buffer
      - .actual_access:  read_only
        .address_space:  global
        .offset:         48
        .size:           8
        .value_kind:     global_buffer
      - .offset:         56
        .size:           4
        .value_kind:     by_value
      - .actual_access:  read_only
        .address_space:  global
        .offset:         64
        .size:           8
        .value_kind:     global_buffer
      - .actual_access:  read_only
        .address_space:  global
        .offset:         72
        .size:           8
        .value_kind:     global_buffer
      - .address_space:  global
        .offset:         80
        .size:           8
        .value_kind:     global_buffer
    .group_segment_fixed_size: 0
    .kernarg_segment_align: 8
    .kernarg_segment_size: 88
    .language:       OpenCL C
    .language_version:
      - 2
      - 0
    .max_flat_workgroup_size: 56
    .name:           fft_rtc_fwd_len1960_factors_4_7_2_7_5_wgs_56_tpt_56_halfLds_half_ip_CI_unitstride_sbrr_R2C_dirReg
    .private_segment_fixed_size: 0
    .sgpr_count:     34
    .sgpr_spill_count: 0
    .symbol:         fft_rtc_fwd_len1960_factors_4_7_2_7_5_wgs_56_tpt_56_halfLds_half_ip_CI_unitstride_sbrr_R2C_dirReg.kd
    .uniform_work_group_size: 1
    .uses_dynamic_stack: false
    .vgpr_count:     131
    .vgpr_spill_count: 0
    .wavefront_size: 32
    .workgroup_processor_mode: 1
amdhsa.target:   amdgcn-amd-amdhsa--gfx1201
amdhsa.version:
  - 1
  - 2
...

	.end_amdgpu_metadata
